;; amdgpu-corpus repo=ROCm/rccl kind=compiled arch=gfx1250 opt=O3
	.amdgcn_target "amdgcn-amd-amdhsa--gfx1250"
	.amdhsa_code_object_version 6
	.text
	.p2align	2                               ; -- Begin function _ZN12_GLOBAL__N_17runRingI14__hip_fp8_e5m213FuncPreMulSumIS1_E7ProtoLLLi0ELi1ELi0EEEviiP15ncclDevWorkColl
	.type	_ZN12_GLOBAL__N_17runRingI14__hip_fp8_e5m213FuncPreMulSumIS1_E7ProtoLLLi0ELi1ELi0EEEviiP15ncclDevWorkColl,@function
_ZN12_GLOBAL__N_17runRingI14__hip_fp8_e5m213FuncPreMulSumIS1_E7ProtoLLLi0ELi1ELi0EEEviiP15ncclDevWorkColl: ; @_ZN12_GLOBAL__N_17runRingI14__hip_fp8_e5m213FuncPreMulSumIS1_E7ProtoLLLi0ELi1ELi0EEEviiP15ncclDevWorkColl
; %bb.0:
	s_wait_loadcnt_dscnt 0x0
	s_wait_kmcnt 0x0
	s_clause 0x1b
	scratch_store_b32 off, v40, s32 offset:108
	; meta instruction
	scratch_store_b32 off, v41, s32 offset:104
	; meta instruction
	;; [unrolled: 2-line block ×27, first 2 shown]
	scratch_store_b32 off, v91, s32
	s_trap 2
	s_clause 0x2
	flat_load_b32 v12, v[2:3]
	flat_load_b128 v[4:7], v[2:3] offset:72
	flat_load_b64 v[66:67], v[2:3] offset:88
	v_mov_b32_e32 v20, v1
	ds_load_b32 v8, v0
	ds_load_b64 v[22:23], v0
	s_mov_b32 s0, exec_lo
                                        ; implicit-def: $vgpr64_vgpr65
                                        ; implicit-def: $vgpr24_vgpr25
	s_wait_dscnt 0x1
	v_readfirstlane_b32 s10, v8
	s_wait_loadcnt 0x2
	v_bfe_u32 v9, v12, 8, 8
	v_bitop3_b32 v1, v12, 0xff, v12 bitop3:0x3f
	s_delay_alu instid0(VALU_DEP_1) | instskip(NEXT) | instid1(VALU_DEP_1)
	v_add_nc_u32_e32 v10, v9, v1
	v_ashrrev_i32_e32 v11, 31, v10
	s_wait_loadcnt 0x1
	s_delay_alu instid0(VALU_DEP_1) | instskip(SKIP_2) | instid1(VALU_DEP_1)
	v_mul_u64_e32 v[18:19], v[6:7], v[10:11]
	v_and_b32_e32 v10, 0xff, v12
	s_wait_xcnt 0x0
	v_cmpx_ne_u32_e64 v8, v10
	s_xor_b32 s0, exec_lo, s0
	s_cbranch_execz .LBB0_6
; %bb.1:
	s_mov_b32 s1, exec_lo
                                        ; implicit-def: $vgpr64_vgpr65
                                        ; implicit-def: $vgpr24_vgpr25
	v_cmpx_ne_u32_e64 v8, v9
	s_xor_b32 s1, exec_lo, s1
	s_cbranch_execz .LBB0_3
; %bb.2:
	flat_load_b64 v[10:11], v[2:3] offset:96
	v_add_nc_u32_e32 v1, v8, v1
	s_delay_alu instid0(VALU_DEP_1) | instskip(NEXT) | instid1(VALU_DEP_1)
	v_mad_nc_u64_u32 v[24:25], v6, v1, v[4:5]
	v_mad_u32 v8, v7, v1, v25
	v_ashrrev_i32_e32 v1, 31, v1
	s_delay_alu instid0(VALU_DEP_1)
	v_mad_u32 v25, v6, v1, v8
	s_wait_loadcnt_dscnt 0x0
	v_lshrrev_b64 v[64:65], 17, v[10:11]
.LBB0_3:
	s_wait_xcnt 0x0
	s_and_not1_saveexec_b32 s1, s1
	s_cbranch_execz .LBB0_5
; %bb.4:
	flat_load_b32 v1, v[2:3] offset:100
	v_add_nc_u64_e32 v[24:25], v[18:19], v[4:5]
	s_wait_loadcnt 0x1
	v_mov_b64_e32 v[6:7], v[66:67]
	s_wait_loadcnt_dscnt 0x0
	v_lshrrev_b32_e32 v64, 6, v1
.LBB0_5:
	s_wait_xcnt 0x0
	s_or_b32 exec_lo, exec_lo, s1
.LBB0_6:
	s_and_not1_saveexec_b32 s0, s0
	s_cbranch_execz .LBB0_8
; %bb.7:
	flat_load_b64 v[6:7], v[2:3] offset:96
	v_mov_b64_e32 v[24:25], 0
	s_wait_loadcnt_dscnt 0x0
	v_lshlrev_b64_e32 v[64:65], 4, v[6:7]
	v_mov_b64_e32 v[6:7], v[4:5]
.LBB0_8:
	s_wait_xcnt 0x0
	s_or_b32 exec_lo, exec_lo, s0
	s_clause 0x3
	flat_load_b64 v[14:15], v[2:3] offset:104
	flat_load_b128 v[8:11], v[2:3] offset:16
	flat_load_u16 v13, v[2:3] offset:8
	flat_load_b32 v12, v[2:3] offset:4
	v_dual_mov_b32 v1, 0 :: v_dual_mov_b32 v56, 0
	s_mov_b32 s1, 0
	s_mov_b32 s0, exec_lo
	s_wait_loadcnt_dscnt 0x303
	s_wait_xcnt 0x0
	v_and_b32_e32 v2, 0xff, v14
	s_delay_alu instid0(VALU_DEP_1)
	v_cmpx_ne_u16_e32 0, v2
	s_cbranch_execz .LBB0_18
; %bb.9:
	v_bfe_i32 v2, v14, 0, 8
	v_bfrev_b32_e32 v56, 1
	s_mov_b32 s2, exec_lo
	s_delay_alu instid0(VALU_DEP_2)
	v_cmpx_ne_u16_e32 0xff80, v2
	s_cbranch_execz .LBB0_17
; %bb.10:
	v_and_b32_e32 v16, 0x7c, v14
	v_and_b32_e32 v3, 3, v14
	s_mov_b32 s3, exec_lo
                                        ; implicit-def: $vgpr56
	s_delay_alu instid0(VALU_DEP_2)
	v_cmpx_ne_u32_e32 0x7c, v16
	s_xor_b32 s3, exec_lo, s3
	s_cbranch_execz .LBB0_14
; %bb.11:
	v_bfe_u32 v16, v14, 2, 5
	s_mov_b32 s4, exec_lo
	s_delay_alu instid0(VALU_DEP_1)
	v_cmpx_eq_u32_e32 0, v16
; %bb.12:
	v_clz_i32_u32_e32 v3, v3
	s_delay_alu instid0(VALU_DEP_1) | instskip(NEXT) | instid1(VALU_DEP_1)
	v_min_u32_e32 v3, 32, v3
	v_subrev_nc_u32_e32 v16, 29, v3
	s_delay_alu instid0(VALU_DEP_1) | instskip(NEXT) | instid1(VALU_DEP_1)
	v_lshlrev_b64_e32 v[14:15], v16, v[14:15]
	v_dual_sub_nc_u32 v16, 30, v3 :: v_dual_bitop2_b32 v3, 3, v14 bitop3:0x40
; %bb.13:
	s_or_b32 exec_lo, exec_lo, s4
	v_bfe_i32 v2, v2, 0, 16
	s_delay_alu instid0(VALU_DEP_1) | instskip(NEXT) | instid1(VALU_DEP_1)
	v_and_b32_e32 v2, 0x80000000, v2
	v_lshl_add_u32 v2, v16, 23, v2
	s_delay_alu instid0(VALU_DEP_1) | instskip(NEXT) | instid1(VALU_DEP_1)
	v_lshl_or_b32 v2, v3, 21, v2
                                        ; implicit-def: $vgpr3
	v_add_nc_u32_e32 v56, 0x38000000, v2
                                        ; implicit-def: $vgpr2
.LBB0_14:
	s_and_not1_saveexec_b32 s3, s3
; %bb.15:
	v_mov_b32_e32 v14, 0x7f800000
	v_cmp_lt_i16_e32 vcc_lo, -1, v2
	s_delay_alu instid0(VALU_DEP_2) | instskip(SKIP_1) | instid1(VALU_DEP_2)
	v_cndmask_b32_e32 v2, 0xff800000, v14, vcc_lo
	v_cmp_eq_u32_e32 vcc_lo, 0, v3
	v_cndmask_b32_e32 v56, 0x7f800001, v2, vcc_lo
; %bb.16:
	s_or_b32 exec_lo, exec_lo, s3
.LBB0_17:
	s_delay_alu instid0(SALU_CYCLE_1)
	s_or_b32 exec_lo, exec_lo, s2
.LBB0_18:
	s_delay_alu instid0(SALU_CYCLE_1)
	s_or_b32 exec_lo, exec_lo, s0
	s_load_b32 s0, s[8:9], 0x0
	s_bfe_u32 s2, ttmp6, 0x4000c
	s_and_b32 s3, ttmp6, 15
	s_add_co_i32 s2, s2, 1
	s_getreg_b32 s4, hwreg(HW_REG_IB_STS2, 6, 4)
	s_mul_i32 s2, ttmp9, s2
	s_wait_loadcnt_dscnt 0x0
	v_lshrrev_b64 v[14:15], 31, v[12:13]
	s_add_co_i32 s3, s3, s2
	s_cmp_eq_u32 s4, 0
	v_and_b32_e32 v12, 31, v0
	s_cselect_b32 s2, ttmp9, s3
	v_mov_b64_e32 v[26:27], 0
	s_delay_alu instid0(VALU_DEP_3) | instskip(NEXT) | instid1(VALU_DEP_1)
	v_and_b32_e32 v3, 3, v14
	v_and_b32_e32 v13, 0xffff, v3
	s_wait_kmcnt 0x0
	s_cmp_lt_u32 s2, s0
	s_cselect_b32 s0, 12, 18
	s_delay_alu instid0(SALU_CYCLE_1)
	s_add_nc_u64 s[2:3], s[8:9], s[0:1]
	v_cmp_eq_u32_e64 s0, 0, v12
	global_load_u16 v1, v1, s[2:3]
	s_trap 2
	ds_load_b32 v2, v0
	s_wait_dscnt 0x0
	v_cmp_gt_i32_e32 vcc_lo, 0, v2
	s_wait_xcnt 0x0
	v_readfirstlane_b32 s2, v2
	s_cbranch_vccnz .LBB0_20
; %bb.19:
	s_trap 2
	ds_load_b64 v[14:15], v0
	s_mov_b32 s1, 1
	s_wait_dscnt 0x0
	v_readfirstlane_b32 s4, v14
	v_readfirstlane_b32 s5, v15
	flat_load_b64 v[2:3], v2, s[4:5] scale_offset
	s_wait_loadcnt_dscnt 0x0
	v_mad_nc_u64_u32 v[2:3], 0xa8, v13, v[2:3]
	s_clause 0x1
	flat_load_b64 v[32:33], v[2:3] offset:504
	flat_load_b64 v[34:35], v[2:3] offset:608
	v_add_nc_u64_e32 v[28:29], 0x1f8, v[2:3]
	s_wait_xcnt 0x0
	s_delay_alu instid0(VALU_DEP_1)
	v_dual_cndmask_b32 v3, 0, v29, s0 :: v_dual_cndmask_b32 v2, 0, v28, s0
	s_branch .LBB0_21
.LBB0_20:
	v_mov_b64_e32 v[28:29], 0
	v_mov_b64_e32 v[2:3], 0
                                        ; implicit-def: $vgpr34_vgpr35
                                        ; implicit-def: $vgpr32_vgpr33
.LBB0_21:
	s_trap 2
	ds_load_b32 v14, v0
	s_wait_dscnt 0x0
	v_cmp_gt_i32_e32 vcc_lo, 0, v14
	s_cbranch_vccnz .LBB0_23
; %bb.22:
	s_trap 2
	ds_load_b64 v[16:17], v0
	v_cmp_eq_u32_e32 vcc_lo, 0, v12
	s_wait_dscnt 0x0
	v_readfirstlane_b32 s4, v16
	v_readfirstlane_b32 s5, v17
	flat_load_b64 v[14:15], v14, s[4:5] scale_offset
	s_wait_loadcnt_dscnt 0x0
	v_mad_nc_u64_u32 v[26:27], 0xa8, v13, v[14:15]
	s_clause 0x1
	flat_load_b64 v[36:37], v[26:27]
	flat_load_b64 v[16:17], v[26:27] offset:104
	v_dual_cndmask_b32 v53, 0, v27 :: v_dual_cndmask_b32 v52, 0, v26
	s_branch .LBB0_24
.LBB0_23:
	v_mov_b64_e32 v[52:53], 0
                                        ; implicit-def: $vgpr16_vgpr17
                                        ; implicit-def: $vgpr36_vgpr37
.LBB0_24:
	s_wait_xcnt 0x2
	v_subrev_nc_u32_e32 v14, 32, v20
	v_cmp_gt_u32_e32 vcc_lo, s1, v12
	v_mov_b64_e32 v[12:13], 0
	v_mov_b64_e32 v[48:49], 0
                                        ; implicit-def: $vgpr38_vgpr39
	s_delay_alu instid0(VALU_DEP_4)
	v_cmp_ge_i32_e64 s0, v0, v14
	s_and_b32 s9, s0, vcc_lo
	s_wait_xcnt 0x0
	s_and_saveexec_b32 s0, s9
	s_cbranch_execz .LBB0_26
; %bb.25:
	s_clause 0x1
	flat_load_b64 v[48:49], v[2:3] offset:56
	flat_load_b64 v[38:39], v[2:3] offset:104
.LBB0_26:
	s_wait_xcnt 0x0
	s_or_b32 exec_lo, exec_lo, s0
	v_mov_b64_e32 v[50:51], 0
	v_cmp_gt_u32_e64 s0, s1, v0
                                        ; implicit-def: $vgpr54_vgpr55
	s_and_saveexec_b32 s1, s0
	s_cbranch_execz .LBB0_28
; %bb.27:
	flat_load_b64 v[50:51], v[52:53] offset:56
	s_wait_loadcnt_dscnt 0x0
	flat_load_b64 v[54:55], v[50:51] scope:SCOPE_SYS
	s_wait_loadcnt 0x0
	flat_load_b128 v[12:15], v[52:53] offset:96
.LBB0_28:
	s_wait_xcnt 0x0
	s_or_b32 exec_lo, exec_lo, s1
	v_mov_b64_e32 v[52:53], 0
	s_wait_loadcnt 0x0
	v_and_b32_e32 v57, 0xffff, v1
	s_mov_b32 s14, exec_lo
	v_cmpx_ne_u64_e32 0, v[6:7]
	s_cbranch_execnz .LBB0_44
; %bb.29:
	s_or_b32 exec_lo, exec_lo, s14
	s_and_saveexec_b32 s1, s9
	s_cbranch_execnz .LBB0_1594
.LBB0_30:
	s_or_b32 exec_lo, exec_lo, s1
	s_and_saveexec_b32 s1, s0
	s_cbranch_execz .LBB0_32
.LBB0_31:
	s_wait_dscnt 0x0
	flat_store_b64 v[26:27], v[14:15] offset:104
.LBB0_32:
	s_wait_xcnt 0x0
	s_or_b32 exec_lo, exec_lo, s1
	s_delay_alu instid0(SALU_CYCLE_1)
	s_mov_b32 s0, exec_lo
	v_cmpx_ne_u32_e32 32, v20
	s_cbranch_execz .LBB0_1601
; %bb.33:
	s_mov_b32 s1, exec_lo
	v_cmpx_ne_u32_e64 v20, v57
	s_xor_b32 s1, exec_lo, s1
	s_cbranch_execz .LBB0_1599
; %bb.34:
	v_and_b32_e32 v0, 31, v31
	s_mov_b32 s2, exec_lo
	s_delay_alu instid0(VALU_DEP_1)
	v_cmpx_eq_u32_e32 0, v0
	s_cbranch_execz .LBB0_1598
; %bb.35:
	s_mov_b32 s4, exec_lo
	s_mov_b32 s3, exec_lo
	v_mbcnt_lo_u32_b32 v0, s4, 0
	global_wb scope:SCOPE_DEV
	s_wait_storecnt 0x0
	s_wait_loadcnt_dscnt 0x0
	global_inv scope:SCOPE_DEV
	v_cmpx_eq_u32_e32 0, v0
	s_cbranch_execz .LBB0_37
; %bb.36:
	s_bcnt1_i32_b32 s4, s4
	s_delay_alu instid0(SALU_CYCLE_1)
	v_dual_mov_b32 v1, 0 :: v_dual_mov_b32 v0, s4
	s_wait_loadcnt 0x0
	ds_add_u64 v0, v[0:1]
	s_trap 2
.LBB0_37:
	s_or_b32 exec_lo, exec_lo, s3
	s_trap 2
	ds_load_b64 v[2:3], v0
	s_wait_dscnt 0x0
	v_dual_mov_b32 v1, 0 :: v_dual_lshrrev_b32 v0, 5, v20
	s_mov_b32 s3, exec_lo
	s_delay_alu instid0(VALU_DEP_1) | instskip(NEXT) | instid1(VALU_DEP_1)
	v_add_nc_u64_e32 v[0:1], v[52:53], v[0:1]
	v_cmpx_lt_u64_e64 v[2:3], v[0:1]
	s_cbranch_execz .LBB0_1597
; %bb.38:
	s_mov_b32 s4, 0
	s_mov_b32 s7, 0
                                        ; implicit-def: $sgpr5
                                        ; implicit-def: $sgpr6
	s_branch .LBB0_40
.LBB0_39:                               ;   in Loop: Header=BB0_40 Depth=1
	s_or_b32 exec_lo, exec_lo, s9
	s_delay_alu instid0(SALU_CYCLE_1) | instskip(NEXT) | instid1(SALU_CYCLE_1)
	s_and_b32 s8, exec_lo, s10
	s_or_b32 s4, s8, s4
	s_and_not1_b32 s5, s5, exec_lo
	s_and_b32 s8, s6, exec_lo
	s_delay_alu instid0(SALU_CYCLE_1)
	s_or_b32 s5, s5, s8
	s_and_not1_b32 exec_lo, exec_lo, s4
	s_cbranch_execz .LBB0_1595
.LBB0_40:                               ; =>This Inner Loop Header: Depth=1
	s_add_co_i32 s7, s7, 1
	s_delay_alu instid0(SALU_CYCLE_1) | instskip(SKIP_1) | instid1(SALU_CYCLE_1)
	s_cmp_lg_u32 s7, 0x2710
	s_cselect_b32 s8, -1, 0
	s_and_b32 vcc_lo, exec_lo, s8
	s_cbranch_vccz .LBB0_42
; %bb.41:                               ;   in Loop: Header=BB0_40 Depth=1
	s_mov_b32 s10, -1
	s_or_b32 s6, s6, exec_lo
	s_and_saveexec_b32 s9, s8
	s_cbranch_execz .LBB0_39
	s_branch .LBB0_43
.LBB0_42:                               ;   in Loop: Header=BB0_40 Depth=1
	s_trap 2
	ds_load_b64 v[2:3], v0
	s_and_not1_b32 s8, s8, exec_lo
	s_mov_b32 s7, 0
	s_wait_loadcnt_dscnt 0x0
	flat_load_b32 v2, v[2:3] scope:SCOPE_SYS
	s_wait_loadcnt_dscnt 0x0
	global_inv scope:SCOPE_SYS
	v_cmp_eq_u32_e32 vcc_lo, 0, v2
	s_and_b32 s9, vcc_lo, exec_lo
	s_delay_alu instid0(SALU_CYCLE_1)
	s_or_b32 s8, s8, s9
	s_mov_b32 s10, -1
	s_or_b32 s6, s6, exec_lo
	s_and_saveexec_b32 s9, s8
	s_cbranch_execz .LBB0_39
.LBB0_43:                               ;   in Loop: Header=BB0_40 Depth=1
	s_sleep 1
	s_trap 2
	ds_load_b64 v[2:3], v0
	s_wait_dscnt 0x0
	s_and_not1_b32 s6, s6, exec_lo
	v_cmp_ge_u64_e32 vcc_lo, v[2:3], v[0:1]
	s_or_not1_b32 s10, vcc_lo, exec_lo
	s_branch .LBB0_39
.LBB0_44:
	v_add_nc_u64_e32 v[2:3], v[66:67], v[4:5]
	v_dual_mov_b32 v65, 0 :: v_dual_bitop2_b32 v1, 31, v31 bitop3:0x40
	s_ashr_i32 s1, s2, 31
	v_lshlrev_b32_e32 v84, 3, v0
	s_lshr_b32 s1, s1, 29
	s_delay_alu instid0(VALU_DEP_2) | instskip(NEXT) | instid1(VALU_DEP_4)
	v_mov_b32_e32 v85, v65
	v_add_nc_u64_e32 v[68:69], v[2:3], v[18:19]
	v_add_nc_u64_e32 v[2:3], v[24:25], v[10:11]
	v_dual_mov_b32 v21, v65 :: v_dual_lshlrev_b32 v58, 6, v20
	s_add_co_i32 s2, s2, s1
	s_ashr_i32 s11, s10, 31
	v_cmp_eq_u32_e64 s5, 0, v1
	v_dual_mov_b32 v87, v65 :: v_dual_mov_b32 v1, v65
	s_ashr_i32 s4, s2, 3
	s_ashr_i32 s15, s2, 7
	s_lshl_b64 s[2:3], s[10:11], 2
	v_mov_b64_e32 v[80:81], 0
	v_add_nc_u64_e32 v[70:71], s[2:3], v[22:23]
	v_cmp_ne_u64_e64 s1, 0, v[50:51]
	s_wait_dscnt 0x0
	v_cmp_ne_u64_e64 s2, 0, v[12:13]
	v_add_nc_u64_e32 v[96:97], v[10:11], v[84:85]
	v_cmp_ne_u64_e64 s6, 0, v[48:49]
	v_add_nc_u64_e32 v[8:9], v[8:9], v[84:85]
	v_add_nc_u64_e32 v[98:99], v[2:3], v[84:85]
	v_lshlrev_b64_e32 v[102:103], 4, v[20:21]
	v_mov_b64_e32 v[52:53], 0
	v_and_b32_e32 v66, 0x1fffff0, v64
	v_dual_mov_b32 v67, v65 :: v_dual_lshrrev_b32 v82, 5, v20
	s_and_b32 s11, s4, -16
	v_cmp_ne_u32_e64 s3, 32, v20
	v_cmp_ne_u32_e64 s4, v20, v57
	v_dual_mov_b32 v83, v65 :: v_dual_lshlrev_b32 v86, 3, v20
	v_lshl_add_u64 v[100:101], v[0:1], 4, v[36:37]
	v_dual_mov_b32 v1, 1 :: v_dual_mov_b32 v60, 0
	v_mov_b32_e32 v21, 0x7f800000
	v_mov_b32_e32 v59, 0x7c
	s_cmp_gt_i32 s10, 2
	s_mov_b64 s[12:13], 0xffffffffffffff
	s_mov_b32 s16, 0
	s_cselect_b32 s17, -1, 0
	s_branch .LBB0_46
.LBB0_45:                               ;   in Loop: Header=BB0_46 Depth=1
	s_wait_xcnt 0x0
	s_or_b32 exec_lo, exec_lo, s7
	v_add_nc_u64_e32 v[80:81], v[80:81], v[66:67]
	v_add_nc_u64_e32 v[34:35], 1, v[34:35]
	;; [unrolled: 1-line block ×3, first 2 shown]
	s_delay_alu instid0(VALU_DEP_3) | instskip(SKIP_1) | instid1(SALU_CYCLE_1)
	v_cmp_ge_u64_e32 vcc_lo, v[80:81], v[6:7]
	s_or_b32 s16, vcc_lo, s16
	s_and_not1_b32 exec_lo, exec_lo, s16
	s_cbranch_execz .LBB0_1593
.LBB0_46:                               ; =>This Loop Header: Depth=1
                                        ;     Child Loop BB0_51 Depth 2
                                        ;     Child Loop BB0_70 Depth 2
	;; [unrolled: 1-line block ×5, first 2 shown]
                                        ;       Child Loop BB0_340 Depth 3
                                        ;       Child Loop BB0_359 Depth 3
	;; [unrolled: 1-line block ×3, first 2 shown]
                                        ;         Child Loop BB0_388 Depth 4
                                        ;       Child Loop BB0_963 Depth 3
                                        ;       Child Loop BB0_376 Depth 3
                                        ;     Child Loop BB0_979 Depth 2
                                        ;       Child Loop BB0_987 Depth 3
                                        ;     Child Loop BB0_1581 Depth 2
	flat_load_b32 v114, v[70:71] offset:-4
	v_sub_nc_u64_e32 v[2:3], v[6:7], v[80:81]
	s_delay_alu instid0(VALU_DEP_1) | instskip(NEXT) | instid1(VALU_DEP_1)
	v_min_u64 v[2:3], v[66:67], v[2:3]
	v_lshl_add_u32 v3, v2, 1, 14
	s_delay_alu instid0(VALU_DEP_1)
	v_and_b32_e32 v30, 0x7fffff0, v3
	s_wait_xcnt 0x0
	s_and_saveexec_b32 s8, s1
	s_cbranch_execz .LBB0_62
; %bb.47:                               ;   in Loop: Header=BB0_46 Depth=1
	v_add_nc_u64_e32 v[4:5], 1, v[14:15]
	v_add_nc_u64_e32 v[18:19], 8, v[54:55]
	s_mov_b32 s18, exec_lo
	s_delay_alu instid0(VALU_DEP_1)
	v_cmpx_lt_u64_e64 v[18:19], v[4:5]
	s_cbranch_execz .LBB0_59
; %bb.48:                               ;   in Loop: Header=BB0_46 Depth=1
	s_mov_b32 s19, 0
	s_mov_b32 s23, 0
	v_cmp_eq_u32_e32 vcc_lo, 0, v60
                                        ; implicit-def: $sgpr20
                                        ; implicit-def: $sgpr21
                                        ; implicit-def: $sgpr22
	s_branch .LBB0_51
.LBB0_49:                               ;   in Loop: Header=BB0_51 Depth=2
	s_or_b32 exec_lo, exec_lo, s28
	s_delay_alu instid0(SALU_CYCLE_1)
	s_and_not1_b32 s7, s22, exec_lo
	s_and_b32 s22, s26, exec_lo
	s_and_not1_b32 s21, s21, exec_lo
	s_and_b32 s25, s25, exec_lo
	s_or_b32 s22, s7, s22
	s_or_b32 s21, s21, s25
.LBB0_50:                               ;   in Loop: Header=BB0_51 Depth=2
	s_or_b32 exec_lo, exec_lo, s24
	s_delay_alu instid0(SALU_CYCLE_1) | instskip(NEXT) | instid1(SALU_CYCLE_1)
	s_and_b32 s7, exec_lo, s21
	s_or_b32 s19, s7, s19
	s_and_not1_b32 s7, s20, exec_lo
	s_and_b32 s20, s22, exec_lo
	s_delay_alu instid0(SALU_CYCLE_1)
	s_or_b32 s20, s7, s20
	s_and_not1_b32 exec_lo, exec_lo, s19
	s_cbranch_execz .LBB0_56
.LBB0_51:                               ;   Parent Loop BB0_46 Depth=1
                                        ; =>  This Inner Loop Header: Depth=2
	s_sleep 1
	s_wait_loadcnt_dscnt 0x0
	flat_load_b64 v[54:55], v[50:51] scope:SCOPE_DEV
	v_mov_b32_e32 v60, 1
	s_or_b32 s22, s22, exec_lo
	s_or_b32 s21, s21, exec_lo
                                        ; implicit-def: $vgpr3
	s_wait_xcnt 0x0
	s_and_saveexec_b32 s24, vcc_lo
	s_cbranch_execz .LBB0_50
; %bb.52:                               ;   in Loop: Header=BB0_51 Depth=2
	s_add_co_i32 s23, s23, 1
	s_mov_b32 s25, -1
	s_cmp_lg_u32 s23, 0x2710
	s_mov_b32 s26, -1
	s_cselect_b32 s27, -1, 0
	s_cmp_eq_u32 s23, 0x2710
                                        ; implicit-def: $vgpr3
	s_cbranch_scc1 .LBB0_54
; %bb.53:                               ;   in Loop: Header=BB0_51 Depth=2
	v_mov_b32_e32 v60, 1
	s_and_saveexec_b32 s28, s27
	s_cbranch_execz .LBB0_49
	s_branch .LBB0_55
.LBB0_54:                               ;   in Loop: Header=BB0_51 Depth=2
	s_trap 2
	ds_load_b64 v[18:19], v0
	s_and_not1_b32 s23, s27, exec_lo
	s_mov_b32 s26, 0
	s_wait_storecnt 0x0
	s_wait_loadcnt_dscnt 0x0
	flat_load_b32 v3, v[18:19] scope:SCOPE_SYS
	s_wait_loadcnt_dscnt 0x0
	global_inv scope:SCOPE_SYS
	v_cmp_eq_u32_e64 s7, 0, v3
	s_and_b32 s7, s7, exec_lo
	s_delay_alu instid0(SALU_CYCLE_1)
	s_or_b32 s27, s23, s7
	s_mov_b32 s23, 0
	v_mov_b32_e32 v60, 1
	s_and_saveexec_b32 s28, s27
	s_cbranch_execz .LBB0_49
.LBB0_55:                               ;   in Loop: Header=BB0_51 Depth=2
	s_wait_loadcnt_dscnt 0x0
	v_add_nc_u64_e32 v[18:19], 8, v[54:55]
	v_mov_b32_e32 v60, 0
	s_or_b32 s26, s26, exec_lo
	s_delay_alu instid0(VALU_DEP_2)
	v_cmp_ge_u64_e64 s7, v[18:19], v[4:5]
	s_or_not1_b32 s25, s7, exec_lo
	s_branch .LBB0_49
.LBB0_56:                               ;   in Loop: Header=BB0_46 Depth=1
	s_or_b32 exec_lo, exec_lo, s19
	s_xor_b32 s7, s20, -1
	s_delay_alu instid0(SALU_CYCLE_1) | instskip(NEXT) | instid1(SALU_CYCLE_1)
	s_and_saveexec_b32 s19, s7
	s_xor_b32 s7, exec_lo, s19
	s_cbranch_execz .LBB0_58
; %bb.57:                               ;   in Loop: Header=BB0_46 Depth=1
	v_mov_b32_e32 v60, 1
	s_wait_storecnt 0x0
	s_wait_loadcnt_dscnt 0x0
	ds_store_b32 v0, v3
	s_trap 2
.LBB0_58:                               ;   in Loop: Header=BB0_46 Depth=1
	s_or_b32 exec_lo, exec_lo, s7
.LBB0_59:                               ;   in Loop: Header=BB0_46 Depth=1
	s_delay_alu instid0(SALU_CYCLE_1)
	s_or_b32 exec_lo, exec_lo, s18
	s_and_saveexec_b32 s7, s2
	s_cbranch_execz .LBB0_61
; %bb.60:                               ;   in Loop: Header=BB0_46 Depth=1
	v_and_b32_e32 v64, 0x7ffffff8, v14
	v_and_b32_e32 v3, 7, v14
	s_delay_alu instid0(VALU_DEP_2) | instskip(NEXT) | instid1(VALU_DEP_2)
	v_cmp_eq_u64_e32 vcc_lo, 0x7ffffff8, v[64:65]
	v_mad_nc_u64_u32 v[14:15], v3, 24, v[12:13]
	v_cndmask_b32_e64 v18, v30, s11, vcc_lo
	s_delay_alu instid0(VALU_DEP_1)
	v_ashrrev_i32_e32 v19, 31, v18
	flat_store_b64 v[14:15], v[18:19] offset:8 scope:SCOPE_SYS
	s_wait_storecnt 0x0
.LBB0_61:                               ;   in Loop: Header=BB0_46 Depth=1
	s_wait_xcnt 0x0
	s_or_b32 exec_lo, exec_lo, s7
	v_mov_b64_e32 v[14:15], v[4:5]
.LBB0_62:                               ;   in Loop: Header=BB0_46 Depth=1
	s_or_b32 exec_lo, exec_lo, s8
	s_and_saveexec_b32 s7, s3
	s_cbranch_execz .LBB0_81
; %bb.63:                               ;   in Loop: Header=BB0_46 Depth=1
	s_and_saveexec_b32 s8, s4
	s_delay_alu instid0(SALU_CYCLE_1)
	s_xor_b32 s8, exec_lo, s8
	s_cbranch_execz .LBB0_78
; %bb.64:                               ;   in Loop: Header=BB0_46 Depth=1
	s_and_saveexec_b32 s18, s5
	s_cbranch_execz .LBB0_77
; %bb.65:                               ;   in Loop: Header=BB0_46 Depth=1
	s_mov_b32 s20, exec_lo
	s_mov_b32 s19, exec_lo
	v_mbcnt_lo_u32_b32 v3, s20, 0
	global_wb scope:SCOPE_DEV
	s_wait_storecnt 0x0
	s_wait_loadcnt_dscnt 0x0
	global_inv scope:SCOPE_DEV
	v_cmpx_eq_u32_e32 0, v3
	s_cbranch_execz .LBB0_67
; %bb.66:                               ;   in Loop: Header=BB0_46 Depth=1
	s_bcnt1_i32_b32 s20, s20
	s_delay_alu instid0(SALU_CYCLE_1)
	v_mov_b32_e32 v64, s20
	s_wait_loadcnt 0x0
	ds_add_u64 v0, v[64:65]
	s_trap 2
.LBB0_67:                               ;   in Loop: Header=BB0_46 Depth=1
	s_or_b32 exec_lo, exec_lo, s19
	s_trap 2
	ds_load_b64 v[4:5], v0
	s_wait_dscnt 0x0
	v_add_nc_u64_e32 v[52:53], v[52:53], v[82:83]
	s_mov_b32 s19, exec_lo
	s_delay_alu instid0(VALU_DEP_1)
	v_cmpx_lt_u64_e64 v[4:5], v[52:53]
	s_cbranch_execz .LBB0_76
; %bb.68:                               ;   in Loop: Header=BB0_46 Depth=1
	s_mov_b32 s20, 0
	s_mov_b32 s23, 0
                                        ; implicit-def: $sgpr21
                                        ; implicit-def: $sgpr22
	s_branch .LBB0_70
.LBB0_69:                               ;   in Loop: Header=BB0_70 Depth=2
	s_or_b32 exec_lo, exec_lo, s25
	s_delay_alu instid0(SALU_CYCLE_1) | instskip(NEXT) | instid1(SALU_CYCLE_1)
	s_and_b32 s24, exec_lo, s26
	s_or_b32 s20, s24, s20
	s_and_not1_b32 s21, s21, exec_lo
	s_and_b32 s24, s22, exec_lo
	s_delay_alu instid0(SALU_CYCLE_1)
	s_or_b32 s21, s21, s24
	s_and_not1_b32 exec_lo, exec_lo, s20
	s_cbranch_execz .LBB0_74
.LBB0_70:                               ;   Parent Loop BB0_46 Depth=1
                                        ; =>  This Inner Loop Header: Depth=2
	s_add_co_i32 s23, s23, 1
	s_delay_alu instid0(SALU_CYCLE_1) | instskip(SKIP_1) | instid1(SALU_CYCLE_1)
	s_cmp_lg_u32 s23, 0x2710
	s_cselect_b32 s24, -1, 0
	s_and_b32 vcc_lo, exec_lo, s24
	s_cbranch_vccz .LBB0_72
; %bb.71:                               ;   in Loop: Header=BB0_70 Depth=2
	s_mov_b32 s26, -1
	s_or_b32 s22, s22, exec_lo
	s_and_saveexec_b32 s25, s24
	s_cbranch_execz .LBB0_69
	s_branch .LBB0_73
.LBB0_72:                               ;   in Loop: Header=BB0_70 Depth=2
	s_trap 2
	ds_load_b64 v[4:5], v0
	s_and_not1_b32 s24, s24, exec_lo
	s_mov_b32 s23, 0
	s_wait_loadcnt_dscnt 0x0
	flat_load_b32 v3, v[4:5] scope:SCOPE_SYS
	s_wait_loadcnt_dscnt 0x0
	global_inv scope:SCOPE_SYS
	v_cmp_eq_u32_e32 vcc_lo, 0, v3
	s_and_b32 s25, vcc_lo, exec_lo
	s_delay_alu instid0(SALU_CYCLE_1)
	s_or_b32 s24, s24, s25
	s_mov_b32 s26, -1
	s_or_b32 s22, s22, exec_lo
	s_and_saveexec_b32 s25, s24
	s_cbranch_execz .LBB0_69
.LBB0_73:                               ;   in Loop: Header=BB0_70 Depth=2
	s_sleep 1
	s_trap 2
	ds_load_b64 v[4:5], v0
	s_wait_dscnt 0x0
	s_and_not1_b32 s22, s22, exec_lo
	v_cmp_ge_u64_e32 vcc_lo, v[4:5], v[52:53]
	s_or_not1_b32 s26, vcc_lo, exec_lo
	s_branch .LBB0_69
.LBB0_74:                               ;   in Loop: Header=BB0_46 Depth=1
	s_or_b32 exec_lo, exec_lo, s20
	s_and_saveexec_b32 s20, s21
	s_delay_alu instid0(SALU_CYCLE_1)
	s_xor_b32 s20, exec_lo, s20
	s_cbranch_execz .LBB0_76
; %bb.75:                               ;   in Loop: Header=BB0_46 Depth=1
	ds_store_b32 v0, v1
	s_trap 2
.LBB0_76:                               ;   in Loop: Header=BB0_46 Depth=1
	s_or_b32 exec_lo, exec_lo, s19
	;;#ASMSTART
	s_wakeup
	;;#ASMEND
.LBB0_77:                               ;   in Loop: Header=BB0_46 Depth=1
	s_or_b32 exec_lo, exec_lo, s18
.LBB0_78:                               ;   in Loop: Header=BB0_46 Depth=1
	s_and_not1_saveexec_b32 s8, s8
	s_cbranch_execz .LBB0_80
; %bb.79:                               ;   in Loop: Header=BB0_46 Depth=1
	global_wb scope:SCOPE_DEV
	s_wait_storecnt 0x0
	s_wait_loadcnt_dscnt 0x0
	global_inv scope:SCOPE_DEV
	s_barrier_signal -1
	s_barrier_wait -1
.LBB0_80:                               ;   in Loop: Header=BB0_46 Depth=1
	s_or_b32 exec_lo, exec_lo, s8
.LBB0_81:                               ;   in Loop: Header=BB0_46 Depth=1
	s_delay_alu instid0(SALU_CYCLE_1) | instskip(SKIP_2) | instid1(VALU_DEP_2)
	s_or_b32 exec_lo, exec_lo, s7
	v_dual_mov_b32 v18, v0 :: v_dual_sub_nc_u32 v61, v2, v84
	v_dual_add_nc_u32 v3, 1, v16 :: v_dual_bitop2_b32 v19, 7, v16 bitop3:0x40
	v_cmp_lt_i32_e64 s7, 0, v61
	s_and_saveexec_b32 s18, s7
	s_cbranch_execz .LBB0_329
; %bb.82:                               ;   in Loop: Header=BB0_46 Depth=1
	s_wait_loadcnt_dscnt 0x0
	v_mad_nc_u64_u32 v[112:113], v68, v114, v[98:99]
	v_mul_lo_u32 v4, v19, s15
	v_mul_lo_u32 v18, v68, v114
	v_dual_mov_b32 v119, v61 :: v_dual_ashrrev_i32 v64, 31, v114
	s_mov_b32 s19, 0
	s_delay_alu instid0(VALU_DEP_4) | instskip(NEXT) | instid1(VALU_DEP_4)
	v_mad_u32 v2, v69, v114, v113
	v_ashrrev_i32_e32 v5, 31, v4
	s_delay_alu instid0(VALU_DEP_4) | instskip(SKIP_1) | instid1(VALU_DEP_3)
	v_add_lshl_u32 v118, v98, v18, 3
	v_mov_b32_e32 v18, v0
	v_lshl_add_u64 v[114:115], v[4:5], 4, v[100:101]
	v_mad_u32 v113, v68, v64, v2
	s_branch .LBB0_85
.LBB0_83:                               ;   in Loop: Header=BB0_85 Depth=2
	s_or_b32 exec_lo, exec_lo, s20
.LBB0_84:                               ;   in Loop: Header=BB0_85 Depth=2
	s_delay_alu instid0(SALU_CYCLE_1) | instskip(SKIP_3) | instid1(VALU_DEP_3)
	s_or_b32 exec_lo, exec_lo, s8
	v_dual_lshlrev_b32 v2, 8, v41 :: v_dual_lshlrev_b32 v5, 16, v42
	v_dual_lshlrev_b32 v64, 8, v45 :: v_dual_lshlrev_b32 v116, 16, v46
	;; [unrolled: 1-line block ×3, first 2 shown]
	v_or3_b32 v2, v2, v40, v5
	v_dual_mov_b32 v5, v3 :: v_dual_add_nc_u32 v18, v18, v20
	s_delay_alu instid0(VALU_DEP_4) | instskip(SKIP_1) | instid1(VALU_DEP_4)
	v_or3_b32 v64, v64, v44, v116
	v_sub_nc_u32_e32 v119, v119, v86
	v_or3_b32 v2, v2, v117, 0
	v_add_nc_u64_e32 v[112:113], v[112:113], v[86:87]
	v_add_nc_u32_e32 v118, v118, v58
	v_or3_b32 v4, v64, v4, 0
	v_cmp_gt_i32_e32 vcc_lo, 1, v119
	global_store_b128 v[114:115], v[2:5], off
	s_wait_xcnt 0x0
	v_add_nc_u64_e32 v[114:115], v[114:115], v[102:103]
	s_or_b32 s19, vcc_lo, s19
	s_delay_alu instid0(SALU_CYCLE_1)
	s_and_not1_b32 exec_lo, exec_lo, s19
	s_cbranch_execz .LBB0_328
.LBB0_85:                               ;   Parent Loop BB0_46 Depth=1
                                        ; =>  This Inner Loop Header: Depth=2
	s_delay_alu instid0(VALU_DEP_1)
	v_dual_mov_b32 v5, v113 :: v_dual_bitop2_b32 v4, -4, v112 bitop3:0x40
	v_min_u32_e32 v64, 8, v119
	v_dual_mov_b32 v44, 0 :: v_dual_bitop2_b32 v116, 3, v112 bitop3:0x40
	v_mov_b32_e32 v45, 0
	global_load_b32 v2, v[4:5], off th:TH_LOAD_NT
	s_mov_b32 s8, exec_lo
	v_add_nc_u32_e32 v64, v116, v64
	s_wait_xcnt 0x0
	s_delay_alu instid0(VALU_DEP_1)
	v_cmpx_lt_u32_e32 4, v64
	s_cbranch_execz .LBB0_87
; %bb.86:                               ;   in Loop: Header=BB0_85 Depth=2
	global_load_b32 v45, v[4:5], off offset:4 th:TH_LOAD_NT
.LBB0_87:                               ;   in Loop: Header=BB0_85 Depth=2
	s_wait_xcnt 0x0
	s_or_b32 exec_lo, exec_lo, s8
	s_delay_alu instid0(SALU_CYCLE_1)
	s_mov_b32 s8, exec_lo
	v_cmpx_lt_u64_e32 8, v[64:65]
	s_cbranch_execz .LBB0_89
; %bb.88:                               ;   in Loop: Header=BB0_85 Depth=2
	global_load_b32 v44, v[4:5], off offset:8 th:TH_LOAD_NT
.LBB0_89:                               ;   in Loop: Header=BB0_85 Depth=2
	s_wait_xcnt 0x0
	s_or_b32 exec_lo, exec_lo, s8
	s_wait_loadcnt 0x0
	v_alignbit_b32 v64, v45, v2, v118
	s_delay_alu instid0(VALU_DEP_1) | instskip(NEXT) | instid1(VALU_DEP_1)
	v_and_b32_e32 v2, 0xff, v64
	v_cmp_ne_u16_e32 vcc_lo, 0, v2
	v_mov_b32_e32 v2, 0
	s_and_saveexec_b32 s8, vcc_lo
	s_cbranch_execz .LBB0_99
; %bb.90:                               ;   in Loop: Header=BB0_85 Depth=2
	v_bfe_i32 v5, v64, 0, 8
	v_bfrev_b32_e32 v2, 1
	s_mov_b32 s20, exec_lo
	s_delay_alu instid0(VALU_DEP_2)
	v_cmpx_ne_u16_e32 0xff80, v5
	s_cbranch_execz .LBB0_98
; %bb.91:                               ;   in Loop: Header=BB0_85 Depth=2
	v_and_b32_e32 v2, 0x7c, v64
	v_and_b32_e32 v4, 3, v64
	s_delay_alu instid0(VALU_DEP_2) | instskip(SKIP_1) | instid1(SALU_CYCLE_1)
	v_cmp_ne_u32_e32 vcc_lo, 0x7c, v2
                                        ; implicit-def: $vgpr2
	s_and_saveexec_b32 s21, vcc_lo
	s_xor_b32 s21, exec_lo, s21
	s_cbranch_execz .LBB0_95
; %bb.92:                               ;   in Loop: Header=BB0_85 Depth=2
	v_bfe_u32 v2, v64, 2, 5
	s_mov_b32 s22, exec_lo
	s_delay_alu instid0(VALU_DEP_1)
	v_cmpx_eq_u32_e32 0, v2
; %bb.93:                               ;   in Loop: Header=BB0_85 Depth=2
	v_clz_i32_u32_e32 v2, v4
	s_delay_alu instid0(VALU_DEP_1) | instskip(NEXT) | instid1(VALU_DEP_1)
	v_min_u32_e32 v2, 32, v2
	v_subrev_nc_u32_e32 v4, 29, v2
	s_delay_alu instid0(VALU_DEP_1) | instskip(NEXT) | instid1(VALU_DEP_1)
	v_lshlrev_b64_e32 v[4:5], v4, v[64:65]
	v_dual_sub_nc_u32 v2, 30, v2 :: v_dual_bitop2_b32 v4, 3, v4 bitop3:0x40
; %bb.94:                               ;   in Loop: Header=BB0_85 Depth=2
	s_or_b32 exec_lo, exec_lo, s22
	v_lshlrev_b32_e32 v5, 24, v64
	s_delay_alu instid0(VALU_DEP_1) | instskip(NEXT) | instid1(VALU_DEP_1)
	v_and_b32_e32 v5, 0x80000000, v5
	v_lshl_add_u32 v2, v2, 23, v5
                                        ; implicit-def: $vgpr5
	s_delay_alu instid0(VALU_DEP_1) | instskip(NEXT) | instid1(VALU_DEP_1)
	v_lshl_or_b32 v2, v4, 21, v2
                                        ; implicit-def: $vgpr4
	v_add_nc_u32_e32 v2, 0x38000000, v2
.LBB0_95:                               ;   in Loop: Header=BB0_85 Depth=2
	s_and_not1_saveexec_b32 s21, s21
; %bb.96:                               ;   in Loop: Header=BB0_85 Depth=2
	v_cmp_lt_i16_e32 vcc_lo, -1, v5
	v_cndmask_b32_e32 v2, 0xff800000, v21, vcc_lo
	v_cmp_eq_u32_e32 vcc_lo, 0, v4
	s_delay_alu instid0(VALU_DEP_2)
	v_cndmask_b32_e32 v2, 0x7f800001, v2, vcc_lo
; %bb.97:                               ;   in Loop: Header=BB0_85 Depth=2
	s_or_b32 exec_lo, exec_lo, s21
.LBB0_98:                               ;   in Loop: Header=BB0_85 Depth=2
	s_delay_alu instid0(SALU_CYCLE_1)
	s_or_b32 exec_lo, exec_lo, s20
.LBB0_99:                               ;   in Loop: Header=BB0_85 Depth=2
	s_delay_alu instid0(SALU_CYCLE_1) | instskip(NEXT) | instid1(VALU_DEP_1)
	s_or_b32 exec_lo, exec_lo, s8
	v_dual_mul_f32 v116, v56, v2 :: v_dual_mov_b32 v41, v65
	s_delay_alu instid0(VALU_DEP_1) | instskip(SKIP_2) | instid1(VALU_DEP_2)
	v_dual_mov_b32 v5, v65 :: v_dual_lshrrev_b32 v2, 24, v116
	v_and_b32_e32 v40, 0x7f800000, v116
	v_and_b32_e32 v4, 0x7fffff, v116
	v_cmp_ne_u64_e32 vcc_lo, 0x7f800000, v[40:41]
                                        ; implicit-def: $vgpr40
	s_and_saveexec_b32 s8, vcc_lo
	s_delay_alu instid0(SALU_CYCLE_1)
	s_xor_b32 s20, exec_lo, s8
	s_cbranch_execz .LBB0_113
; %bb.100:                              ;   in Loop: Header=BB0_85 Depth=2
	v_and_b32_e32 v40, 0x7fffffff, v116
	v_mov_b32_e32 v41, v65
	v_and_b32_e32 v2, 0x80, v2
	s_delay_alu instid0(VALU_DEP_2) | instskip(SKIP_1) | instid1(SALU_CYCLE_1)
	v_cmp_gt_u64_e32 vcc_lo, 0x47600001, v[40:41]
                                        ; implicit-def: $vgpr40
	s_and_saveexec_b32 s8, vcc_lo
	s_xor_b32 s21, exec_lo, s8
	s_cbranch_execz .LBB0_110
; %bb.101:                              ;   in Loop: Header=BB0_85 Depth=2
	v_mov_b32_e32 v40, 0
	s_mov_b32 s22, exec_lo
	v_cmpx_ne_u32_e32 0, v116
	s_cbranch_execz .LBB0_109
; %bb.102:                              ;   in Loop: Header=BB0_85 Depth=2
	v_bfe_u32 v40, v116, 23, 8
	v_or_b32_e32 v42, 0x800000, v4
	s_delay_alu instid0(VALU_DEP_2) | instskip(SKIP_1) | instid1(VALU_DEP_2)
	v_sub_nc_u32_e32 v116, 0x71, v40
	v_cmp_gt_u32_e32 vcc_lo, 0x72, v40
	v_cndmask_b32_e32 v116, 0, v116, vcc_lo
	v_cmp_eq_u32_e32 vcc_lo, 0, v40
	s_delay_alu instid0(VALU_DEP_2) | instskip(NEXT) | instid1(VALU_DEP_1)
	v_cndmask_b32_e64 v41, v116, 0x70, vcc_lo
	v_dual_cndmask_b32 v4, v42, v4, vcc_lo :: v_dual_add_nc_u32 v116, 21, v41
	v_add_nc_u32_e32 v43, 20, v41
	s_delay_alu instid0(VALU_DEP_2) | instskip(NEXT) | instid1(VALU_DEP_2)
	v_lshlrev_b64_e64 v[116:117], v116, -1
	v_lshlrev_b64_e64 v[42:43], v43, 1
	s_delay_alu instid0(VALU_DEP_2) | instskip(SKIP_1) | instid1(VALU_DEP_4)
	v_bfi_b32 v116, v116, 0, v4
	v_lshrrev_b64 v[4:5], v41, v[4:5]
	v_bfi_b32 v117, v117, 0, 0
	s_delay_alu instid0(VALU_DEP_1) | instskip(NEXT) | instid1(VALU_DEP_3)
	v_cmp_eq_u64_e64 s8, v[116:117], v[42:43]
	v_mov_b64_e32 v[116:117], v[4:5]
	s_and_saveexec_b32 s23, s8
; %bb.103:                              ;   in Loop: Header=BB0_85 Depth=2
	v_bfe_u32 v116, v4, 21, 1
	v_mov_b32_e32 v117, v65
	s_delay_alu instid0(VALU_DEP_1) | instskip(NEXT) | instid1(VALU_DEP_1)
	v_add_nc_u64_e32 v[116:117], v[4:5], v[116:117]
	v_add_nc_u64_e32 v[116:117], -1, v[116:117]
; %bb.104:                              ;   in Loop: Header=BB0_85 Depth=2
	s_or_b32 exec_lo, exec_lo, s23
	v_add_nc_u32_e32 v5, 0xffffff81, v40
	v_lshrrev_b32_e32 v117, 23, v4
	s_mov_b32 s8, exec_lo
	s_delay_alu instid0(VALU_DEP_2) | instskip(NEXT) | instid1(VALU_DEP_1)
	v_cndmask_b32_e64 v5, v5, 0xffffff82, vcc_lo
	v_add3_u32 v117, v41, v5, v117
	v_and_b32_e32 v5, 0x1fffff, v116
                                        ; implicit-def: $vgpr116
	s_delay_alu instid0(VALU_DEP_1) | instskip(SKIP_1) | instid1(VALU_DEP_2)
	v_dual_add_nc_u32 v40, 14, v117 :: v_dual_add_nc_u32 v4, v5, v4
	v_mov_b32_e32 v5, v65
	v_cmpx_ne_u32_e32 0, v40
	s_xor_b32 s8, exec_lo, s8
; %bb.105:                              ;   in Loop: Header=BB0_85 Depth=2
	s_delay_alu instid0(VALU_DEP_2) | instskip(SKIP_2) | instid1(VALU_DEP_2)
	v_cmp_lt_u64_e32 vcc_lo, 0xffffff, v[4:5]
	v_add_nc_u32_e32 v116, 15, v117
	v_cndmask_b32_e64 v117, 0, 1, vcc_lo
	v_cndmask_b32_e32 v116, v40, v116, vcc_lo
	s_delay_alu instid0(VALU_DEP_2)
	v_lshrrev_b64 v[4:5], v117, v[4:5]
; %bb.106:                              ;   in Loop: Header=BB0_85 Depth=2
	s_and_not1_saveexec_b32 s8, s8
; %bb.107:                              ;   in Loop: Header=BB0_85 Depth=2
	s_delay_alu instid0(VALU_DEP_1)
	v_bfe_u32 v116, v4, 23, 1
; %bb.108:                              ;   in Loop: Header=BB0_85 Depth=2
	s_or_b32 exec_lo, exec_lo, s8
	s_delay_alu instid0(VALU_DEP_2) | instskip(NEXT) | instid1(VALU_DEP_2)
	v_lshrrev_b64 v[4:5], 21, v[4:5]
	v_cmp_gt_i32_e32 vcc_lo, 32, v116
	v_min_i32_e32 v117, 31, v116
	v_cmp_eq_u32_e64 s8, 0, v116
	s_delay_alu instid0(VALU_DEP_4) | instskip(NEXT) | instid1(VALU_DEP_3)
	v_cndmask_b32_e32 v5, 0, v5, vcc_lo
	v_dual_cndmask_b32 v4, 3, v4 :: v_dual_lshlrev_b32 v117, 2, v117
	s_delay_alu instid0(VALU_DEP_1) | instskip(NEXT) | instid1(VALU_DEP_2)
	v_and_b32_e32 v117, 0xfc, v117
	v_cmp_eq_u64_e32 vcc_lo, 0, v[4:5]
	s_delay_alu instid0(VALU_DEP_2)
	v_and_or_b32 v4, v4, 3, v117
	s_and_b32 s8, s8, vcc_lo
	s_delay_alu instid0(VALU_DEP_1) | instid1(SALU_CYCLE_1)
	v_cndmask_b32_e64 v4, v4, 0, s8
	s_delay_alu instid0(VALU_DEP_1)
	v_or_b32_e32 v40, v4, v2
.LBB0_109:                              ;   in Loop: Header=BB0_85 Depth=2
	s_or_b32 exec_lo, exec_lo, s22
                                        ; implicit-def: $vgpr2
.LBB0_110:                              ;   in Loop: Header=BB0_85 Depth=2
	s_and_not1_saveexec_b32 s8, s21
; %bb.111:                              ;   in Loop: Header=BB0_85 Depth=2
	v_or_b32_e32 v40, 0x7b, v2
; %bb.112:                              ;   in Loop: Header=BB0_85 Depth=2
	s_or_b32 exec_lo, exec_lo, s8
                                        ; implicit-def: $vgpr116
                                        ; implicit-def: $vgpr4_vgpr5
                                        ; implicit-def: $vgpr2
.LBB0_113:                              ;   in Loop: Header=BB0_85 Depth=2
	s_and_not1_saveexec_b32 s8, s20
	s_cbranch_execz .LBB0_119
; %bb.114:                              ;   in Loop: Header=BB0_85 Depth=2
	s_mov_b32 s20, exec_lo
                                        ; implicit-def: $vgpr40
	v_cmpx_ne_u64_e32 0, v[4:5]
	s_xor_b32 s20, exec_lo, s20
; %bb.115:                              ;   in Loop: Header=BB0_85 Depth=2
	v_or_b32_e32 v40, 0x7f, v2
                                        ; implicit-def: $vgpr116
; %bb.116:                              ;   in Loop: Header=BB0_85 Depth=2
	s_and_not1_saveexec_b32 s20, s20
; %bb.117:                              ;   in Loop: Header=BB0_85 Depth=2
	v_cmp_lt_i32_e32 vcc_lo, -1, v116
	v_cndmask_b32_e32 v40, 0xfc, v59, vcc_lo
; %bb.118:                              ;   in Loop: Header=BB0_85 Depth=2
	s_or_b32 exec_lo, exec_lo, s20
.LBB0_119:                              ;   in Loop: Header=BB0_85 Depth=2
	s_delay_alu instid0(SALU_CYCLE_1) | instskip(SKIP_3) | instid1(VALU_DEP_2)
	s_or_b32 exec_lo, exec_lo, s8
	v_lshrrev_b16 v4, 8, v64
	v_mov_b32_e32 v5, 0
	s_mov_b32 s8, exec_lo
	v_cmpx_ne_u16_e32 0, v4
	s_cbranch_execz .LBB0_129
; %bb.120:                              ;   in Loop: Header=BB0_85 Depth=2
	v_bfrev_b32_e32 v5, 1
	s_mov_b32 s20, exec_lo
	v_cmpx_ne_u16_e32 0x80, v4
	s_cbranch_execz .LBB0_128
; %bb.121:                              ;   in Loop: Header=BB0_85 Depth=2
	v_and_b32_e32 v116, 0xffff, v4
	s_delay_alu instid0(VALU_DEP_1) | instskip(SKIP_1) | instid1(VALU_DEP_2)
	v_and_b32_e32 v5, 0x7c, v116
	v_and_b32_e32 v2, 3, v116
	v_cmp_ne_u32_e32 vcc_lo, 0x7c, v5
                                        ; implicit-def: $vgpr5
	s_and_saveexec_b32 s21, vcc_lo
	s_delay_alu instid0(SALU_CYCLE_1)
	s_xor_b32 s21, exec_lo, s21
	s_cbranch_execz .LBB0_125
; %bb.122:                              ;   in Loop: Header=BB0_85 Depth=2
	v_bfe_u32 v5, v116, 2, 5
	s_mov_b32 s22, exec_lo
	s_delay_alu instid0(VALU_DEP_1)
	v_cmpx_eq_u32_e32 0, v5
; %bb.123:                              ;   in Loop: Header=BB0_85 Depth=2
	v_clz_i32_u32_e32 v2, v2
	v_mov_b32_e32 v5, v65
	s_delay_alu instid0(VALU_DEP_2) | instskip(NEXT) | instid1(VALU_DEP_1)
	v_min_u32_e32 v2, 32, v2
	v_subrev_nc_u32_e32 v116, 29, v2
	s_delay_alu instid0(VALU_DEP_1) | instskip(NEXT) | instid1(VALU_DEP_1)
	v_lshlrev_b64_e32 v[4:5], v116, v[4:5]
	v_dual_sub_nc_u32 v5, 30, v2 :: v_dual_bitop2_b32 v2, 3, v4 bitop3:0x40
; %bb.124:                              ;   in Loop: Header=BB0_85 Depth=2
	s_or_b32 exec_lo, exec_lo, s22
	v_lshlrev_b32_e32 v4, 16, v64
	s_delay_alu instid0(VALU_DEP_1) | instskip(NEXT) | instid1(VALU_DEP_1)
	v_and_b32_e32 v4, 0x80000000, v4
	v_lshl_add_u32 v4, v5, 23, v4
	s_delay_alu instid0(VALU_DEP_1) | instskip(NEXT) | instid1(VALU_DEP_1)
	v_lshl_or_b32 v2, v2, 21, v4
	v_add_nc_u32_e32 v5, 0x38000000, v2
                                        ; implicit-def: $vgpr2
.LBB0_125:                              ;   in Loop: Header=BB0_85 Depth=2
	s_and_not1_saveexec_b32 s21, s21
; %bb.126:                              ;   in Loop: Header=BB0_85 Depth=2
	v_cmp_lt_i16_e32 vcc_lo, -1, v64
	v_cndmask_b32_e32 v4, 0xff800000, v21, vcc_lo
	v_cmp_eq_u32_e32 vcc_lo, 0, v2
	s_delay_alu instid0(VALU_DEP_2)
	v_cndmask_b32_e32 v5, 0x7f800001, v4, vcc_lo
; %bb.127:                              ;   in Loop: Header=BB0_85 Depth=2
	s_or_b32 exec_lo, exec_lo, s21
.LBB0_128:                              ;   in Loop: Header=BB0_85 Depth=2
	s_delay_alu instid0(SALU_CYCLE_1)
	s_or_b32 exec_lo, exec_lo, s20
.LBB0_129:                              ;   in Loop: Header=BB0_85 Depth=2
	s_delay_alu instid0(SALU_CYCLE_1) | instskip(NEXT) | instid1(VALU_DEP_1)
	s_or_b32 exec_lo, exec_lo, s8
	v_dual_mul_f32 v116, v56, v5 :: v_dual_mov_b32 v43, v65
	v_mov_b32_e32 v5, v65
                                        ; implicit-def: $vgpr41
	s_mov_b32 s8, exec_lo
	s_delay_alu instid0(VALU_DEP_2) | instskip(SKIP_2) | instid1(VALU_DEP_3)
	v_and_b32_e32 v42, 0x7f800000, v116
	v_and_b32_e32 v4, 0x7fffff, v116
	v_lshrrev_b32_e32 v2, 24, v116
	v_cmpx_ne_u64_e32 0x7f800000, v[42:43]
	s_xor_b32 s20, exec_lo, s8
	s_cbranch_execz .LBB0_143
; %bb.130:                              ;   in Loop: Header=BB0_85 Depth=2
	v_and_b32_e32 v42, 0x7fffffff, v116
	v_mov_b32_e32 v43, v65
	v_and_b32_e32 v2, 0x80, v2
                                        ; implicit-def: $vgpr41
	s_mov_b32 s8, exec_lo
	s_delay_alu instid0(VALU_DEP_2)
	v_cmpx_gt_u64_e32 0x47600001, v[42:43]
	s_xor_b32 s21, exec_lo, s8
	s_cbranch_execz .LBB0_140
; %bb.131:                              ;   in Loop: Header=BB0_85 Depth=2
	v_mov_b32_e32 v41, 0
	s_mov_b32 s22, exec_lo
	v_cmpx_ne_u32_e32 0, v116
	s_cbranch_execz .LBB0_139
; %bb.132:                              ;   in Loop: Header=BB0_85 Depth=2
	v_bfe_u32 v41, v116, 23, 8
	v_or_b32_e32 v43, 0x800000, v4
	s_delay_alu instid0(VALU_DEP_2) | instskip(SKIP_1) | instid1(VALU_DEP_2)
	v_sub_nc_u32_e32 v116, 0x71, v41
	v_cmp_gt_u32_e32 vcc_lo, 0x72, v41
	v_cndmask_b32_e32 v116, 0, v116, vcc_lo
	v_cmp_eq_u32_e32 vcc_lo, 0, v41
	s_delay_alu instid0(VALU_DEP_2) | instskip(NEXT) | instid1(VALU_DEP_1)
	v_cndmask_b32_e64 v42, v116, 0x70, vcc_lo
	v_dual_cndmask_b32 v4, v43, v4, vcc_lo :: v_dual_add_nc_u32 v116, 21, v42
	v_add_nc_u32_e32 v46, 20, v42
	s_delay_alu instid0(VALU_DEP_2) | instskip(NEXT) | instid1(VALU_DEP_2)
	v_lshlrev_b64_e64 v[116:117], v116, -1
	v_lshlrev_b64_e64 v[46:47], v46, 1
	s_delay_alu instid0(VALU_DEP_2) | instskip(SKIP_1) | instid1(VALU_DEP_4)
	v_bfi_b32 v116, v116, 0, v4
	v_lshrrev_b64 v[4:5], v42, v[4:5]
	v_bfi_b32 v117, v117, 0, 0
	s_delay_alu instid0(VALU_DEP_1) | instskip(NEXT) | instid1(VALU_DEP_3)
	v_cmp_eq_u64_e64 s8, v[116:117], v[46:47]
	v_mov_b64_e32 v[116:117], v[4:5]
	s_and_saveexec_b32 s23, s8
; %bb.133:                              ;   in Loop: Header=BB0_85 Depth=2
	v_bfe_u32 v116, v4, 21, 1
	v_mov_b32_e32 v117, v65
	s_delay_alu instid0(VALU_DEP_1) | instskip(NEXT) | instid1(VALU_DEP_1)
	v_add_nc_u64_e32 v[116:117], v[4:5], v[116:117]
	v_add_nc_u64_e32 v[116:117], -1, v[116:117]
; %bb.134:                              ;   in Loop: Header=BB0_85 Depth=2
	s_or_b32 exec_lo, exec_lo, s23
	v_add_nc_u32_e32 v5, 0xffffff81, v41
	v_lshrrev_b32_e32 v117, 23, v4
	s_mov_b32 s8, exec_lo
	s_delay_alu instid0(VALU_DEP_2) | instskip(NEXT) | instid1(VALU_DEP_1)
	v_cndmask_b32_e64 v5, v5, 0xffffff82, vcc_lo
	v_add3_u32 v117, v42, v5, v117
	v_and_b32_e32 v5, 0x1fffff, v116
                                        ; implicit-def: $vgpr116
	s_delay_alu instid0(VALU_DEP_1) | instskip(SKIP_1) | instid1(VALU_DEP_2)
	v_dual_add_nc_u32 v41, 14, v117 :: v_dual_add_nc_u32 v4, v5, v4
	v_mov_b32_e32 v5, v65
	v_cmpx_ne_u32_e32 0, v41
	s_xor_b32 s8, exec_lo, s8
; %bb.135:                              ;   in Loop: Header=BB0_85 Depth=2
	s_delay_alu instid0(VALU_DEP_2) | instskip(SKIP_2) | instid1(VALU_DEP_2)
	v_cmp_lt_u64_e32 vcc_lo, 0xffffff, v[4:5]
	v_add_nc_u32_e32 v116, 15, v117
	v_cndmask_b32_e64 v117, 0, 1, vcc_lo
	v_cndmask_b32_e32 v116, v41, v116, vcc_lo
	s_delay_alu instid0(VALU_DEP_2)
	v_lshrrev_b64 v[4:5], v117, v[4:5]
; %bb.136:                              ;   in Loop: Header=BB0_85 Depth=2
	s_and_not1_saveexec_b32 s8, s8
; %bb.137:                              ;   in Loop: Header=BB0_85 Depth=2
	s_delay_alu instid0(VALU_DEP_1)
	v_bfe_u32 v116, v4, 23, 1
; %bb.138:                              ;   in Loop: Header=BB0_85 Depth=2
	s_or_b32 exec_lo, exec_lo, s8
	s_delay_alu instid0(VALU_DEP_2) | instskip(NEXT) | instid1(VALU_DEP_2)
	v_lshrrev_b64 v[4:5], 21, v[4:5]
	v_cmp_gt_i32_e32 vcc_lo, 32, v116
	v_min_i32_e32 v117, 31, v116
	v_cmp_eq_u32_e64 s8, 0, v116
	s_delay_alu instid0(VALU_DEP_4) | instskip(NEXT) | instid1(VALU_DEP_3)
	v_cndmask_b32_e32 v5, 0, v5, vcc_lo
	v_dual_cndmask_b32 v4, 3, v4 :: v_dual_lshlrev_b32 v117, 2, v117
	s_delay_alu instid0(VALU_DEP_1) | instskip(NEXT) | instid1(VALU_DEP_2)
	v_and_b32_e32 v117, 0xfc, v117
	v_cmp_eq_u64_e32 vcc_lo, 0, v[4:5]
	s_delay_alu instid0(VALU_DEP_2)
	v_and_or_b32 v4, v4, 3, v117
	s_and_b32 s8, s8, vcc_lo
	s_delay_alu instid0(VALU_DEP_1) | instid1(SALU_CYCLE_1)
	v_cndmask_b32_e64 v4, v4, 0, s8
	s_delay_alu instid0(VALU_DEP_1)
	v_or_b32_e32 v41, v4, v2
.LBB0_139:                              ;   in Loop: Header=BB0_85 Depth=2
	s_or_b32 exec_lo, exec_lo, s22
                                        ; implicit-def: $vgpr2
.LBB0_140:                              ;   in Loop: Header=BB0_85 Depth=2
	s_and_not1_saveexec_b32 s8, s21
; %bb.141:                              ;   in Loop: Header=BB0_85 Depth=2
	v_or_b32_e32 v41, 0x7b, v2
; %bb.142:                              ;   in Loop: Header=BB0_85 Depth=2
	s_or_b32 exec_lo, exec_lo, s8
                                        ; implicit-def: $vgpr116
                                        ; implicit-def: $vgpr4_vgpr5
                                        ; implicit-def: $vgpr2
.LBB0_143:                              ;   in Loop: Header=BB0_85 Depth=2
	s_and_not1_saveexec_b32 s8, s20
	s_cbranch_execz .LBB0_149
; %bb.144:                              ;   in Loop: Header=BB0_85 Depth=2
	s_mov_b32 s20, exec_lo
                                        ; implicit-def: $vgpr41
	v_cmpx_ne_u64_e32 0, v[4:5]
	s_xor_b32 s20, exec_lo, s20
; %bb.145:                              ;   in Loop: Header=BB0_85 Depth=2
	v_or_b32_e32 v41, 0x7f, v2
                                        ; implicit-def: $vgpr116
; %bb.146:                              ;   in Loop: Header=BB0_85 Depth=2
	s_and_not1_saveexec_b32 s20, s20
; %bb.147:                              ;   in Loop: Header=BB0_85 Depth=2
	v_cmp_lt_i32_e32 vcc_lo, -1, v116
	v_cndmask_b32_e32 v41, 0xfc, v59, vcc_lo
; %bb.148:                              ;   in Loop: Header=BB0_85 Depth=2
	s_or_b32 exec_lo, exec_lo, s20
.LBB0_149:                              ;   in Loop: Header=BB0_85 Depth=2
	s_delay_alu instid0(SALU_CYCLE_1) | instskip(SKIP_2) | instid1(VALU_DEP_1)
	s_or_b32 exec_lo, exec_lo, s8
	v_dual_mov_b32 v2, 0 :: v_dual_lshrrev_b32 v5, 16, v64
	s_mov_b32 s8, exec_lo
	v_and_b32_e32 v4, 0xff, v5
	s_delay_alu instid0(VALU_DEP_1)
	v_cmpx_ne_u16_e32 0, v4
	s_cbranch_execz .LBB0_159
; %bb.150:                              ;   in Loop: Header=BB0_85 Depth=2
	v_bfrev_b32_e32 v2, 1
	s_mov_b32 s20, exec_lo
	v_cmpx_ne_u16_e32 0x80, v4
	s_cbranch_execz .LBB0_158
; %bb.151:                              ;   in Loop: Header=BB0_85 Depth=2
	v_and_b32_e32 v2, 0x7c0000, v64
	v_bfe_u32 v4, v64, 16, 2
	s_delay_alu instid0(VALU_DEP_2) | instskip(SKIP_1) | instid1(SALU_CYCLE_1)
	v_cmp_ne_u32_e32 vcc_lo, 0x7c0000, v2
                                        ; implicit-def: $vgpr2
	s_and_saveexec_b32 s21, vcc_lo
	s_xor_b32 s21, exec_lo, s21
	s_cbranch_execz .LBB0_155
; %bb.152:                              ;   in Loop: Header=BB0_85 Depth=2
	v_bfe_u32 v5, v64, 18, 5
	v_lshrrev_b32_e32 v2, 16, v64
	s_mov_b32 s22, exec_lo
	s_delay_alu instid0(VALU_DEP_2)
	v_cmpx_eq_u32_e32 0, v5
; %bb.153:                              ;   in Loop: Header=BB0_85 Depth=2
	v_clz_i32_u32_e32 v4, v4
	s_delay_alu instid0(VALU_DEP_1) | instskip(NEXT) | instid1(VALU_DEP_1)
	v_min_u32_e32 v116, 32, v4
	v_subrev_nc_u32_e32 v4, 29, v116
	s_delay_alu instid0(VALU_DEP_1) | instskip(SKIP_1) | instid1(VALU_DEP_2)
	v_lshlrev_b64_e32 v[4:5], v4, v[2:3]
	v_sub_nc_u32_e32 v5, 30, v116
	v_and_b32_e32 v4, 3, v4
; %bb.154:                              ;   in Loop: Header=BB0_85 Depth=2
	s_or_b32 exec_lo, exec_lo, s22
	v_lshlrev_b32_e32 v2, 24, v2
	s_delay_alu instid0(VALU_DEP_1) | instskip(NEXT) | instid1(VALU_DEP_1)
	v_and_b32_e32 v2, 0x80000000, v2
	v_lshl_add_u32 v2, v5, 23, v2
                                        ; implicit-def: $vgpr5
	s_delay_alu instid0(VALU_DEP_1) | instskip(NEXT) | instid1(VALU_DEP_1)
	v_lshl_or_b32 v2, v4, 21, v2
                                        ; implicit-def: $vgpr4
	v_add_nc_u32_e32 v2, 0x38000000, v2
.LBB0_155:                              ;   in Loop: Header=BB0_85 Depth=2
	s_and_not1_saveexec_b32 s21, s21
; %bb.156:                              ;   in Loop: Header=BB0_85 Depth=2
	v_bfe_i32 v2, v5, 0, 8
	s_delay_alu instid0(VALU_DEP_1) | instskip(SKIP_2) | instid1(VALU_DEP_2)
	v_cmp_lt_i16_e32 vcc_lo, -1, v2
	v_cndmask_b32_e32 v2, 0xff800000, v21, vcc_lo
	v_cmp_eq_u32_e32 vcc_lo, 0, v4
	v_cndmask_b32_e32 v2, 0x7f800001, v2, vcc_lo
; %bb.157:                              ;   in Loop: Header=BB0_85 Depth=2
	s_or_b32 exec_lo, exec_lo, s21
.LBB0_158:                              ;   in Loop: Header=BB0_85 Depth=2
	s_delay_alu instid0(SALU_CYCLE_1)
	s_or_b32 exec_lo, exec_lo, s20
.LBB0_159:                              ;   in Loop: Header=BB0_85 Depth=2
	s_delay_alu instid0(SALU_CYCLE_1) | instskip(NEXT) | instid1(VALU_DEP_1)
	s_or_b32 exec_lo, exec_lo, s8
	v_dual_mul_f32 v116, v56, v2 :: v_dual_mov_b32 v43, v65
	s_delay_alu instid0(VALU_DEP_1) | instskip(SKIP_2) | instid1(VALU_DEP_2)
	v_dual_mov_b32 v5, v65 :: v_dual_lshrrev_b32 v2, 24, v116
	v_and_b32_e32 v42, 0x7f800000, v116
	v_and_b32_e32 v4, 0x7fffff, v116
	v_cmp_ne_u64_e32 vcc_lo, 0x7f800000, v[42:43]
                                        ; implicit-def: $vgpr42
	s_and_saveexec_b32 s8, vcc_lo
	s_delay_alu instid0(SALU_CYCLE_1)
	s_xor_b32 s20, exec_lo, s8
	s_cbranch_execz .LBB0_173
; %bb.160:                              ;   in Loop: Header=BB0_85 Depth=2
	v_and_b32_e32 v42, 0x7fffffff, v116
	v_mov_b32_e32 v43, v65
	v_and_b32_e32 v2, 0x80, v2
	s_delay_alu instid0(VALU_DEP_2) | instskip(SKIP_1) | instid1(SALU_CYCLE_1)
	v_cmp_gt_u64_e32 vcc_lo, 0x47600001, v[42:43]
                                        ; implicit-def: $vgpr42
	s_and_saveexec_b32 s8, vcc_lo
	s_xor_b32 s21, exec_lo, s8
	s_cbranch_execz .LBB0_170
; %bb.161:                              ;   in Loop: Header=BB0_85 Depth=2
	v_mov_b32_e32 v42, 0
	s_mov_b32 s22, exec_lo
	v_cmpx_ne_u32_e32 0, v116
	s_cbranch_execz .LBB0_169
; %bb.162:                              ;   in Loop: Header=BB0_85 Depth=2
	v_bfe_u32 v42, v116, 23, 8
	v_or_b32_e32 v46, 0x800000, v4
	s_delay_alu instid0(VALU_DEP_2) | instskip(SKIP_1) | instid1(VALU_DEP_2)
	v_sub_nc_u32_e32 v116, 0x71, v42
	v_cmp_gt_u32_e32 vcc_lo, 0x72, v42
	v_cndmask_b32_e32 v116, 0, v116, vcc_lo
	v_cmp_eq_u32_e32 vcc_lo, 0, v42
	s_delay_alu instid0(VALU_DEP_2) | instskip(NEXT) | instid1(VALU_DEP_1)
	v_cndmask_b32_e64 v43, v116, 0x70, vcc_lo
	v_dual_cndmask_b32 v4, v46, v4, vcc_lo :: v_dual_add_nc_u32 v116, 21, v43
	v_add_nc_u32_e32 v47, 20, v43
	s_delay_alu instid0(VALU_DEP_2) | instskip(NEXT) | instid1(VALU_DEP_2)
	v_lshlrev_b64_e64 v[116:117], v116, -1
	v_lshlrev_b64_e64 v[46:47], v47, 1
	s_delay_alu instid0(VALU_DEP_2) | instskip(SKIP_1) | instid1(VALU_DEP_4)
	v_bfi_b32 v116, v116, 0, v4
	v_lshrrev_b64 v[4:5], v43, v[4:5]
	v_bfi_b32 v117, v117, 0, 0
	s_delay_alu instid0(VALU_DEP_1) | instskip(NEXT) | instid1(VALU_DEP_3)
	v_cmp_eq_u64_e64 s8, v[116:117], v[46:47]
	v_mov_b64_e32 v[116:117], v[4:5]
	s_and_saveexec_b32 s23, s8
; %bb.163:                              ;   in Loop: Header=BB0_85 Depth=2
	v_bfe_u32 v116, v4, 21, 1
	v_mov_b32_e32 v117, v65
	s_delay_alu instid0(VALU_DEP_1) | instskip(NEXT) | instid1(VALU_DEP_1)
	v_add_nc_u64_e32 v[116:117], v[4:5], v[116:117]
	v_add_nc_u64_e32 v[116:117], -1, v[116:117]
; %bb.164:                              ;   in Loop: Header=BB0_85 Depth=2
	s_or_b32 exec_lo, exec_lo, s23
	v_add_nc_u32_e32 v5, 0xffffff81, v42
	v_lshrrev_b32_e32 v117, 23, v4
	s_mov_b32 s8, exec_lo
	s_delay_alu instid0(VALU_DEP_2) | instskip(NEXT) | instid1(VALU_DEP_1)
	v_cndmask_b32_e64 v5, v5, 0xffffff82, vcc_lo
	v_add3_u32 v117, v43, v5, v117
	v_and_b32_e32 v5, 0x1fffff, v116
                                        ; implicit-def: $vgpr116
	s_delay_alu instid0(VALU_DEP_1) | instskip(SKIP_1) | instid1(VALU_DEP_2)
	v_dual_add_nc_u32 v42, 14, v117 :: v_dual_add_nc_u32 v4, v5, v4
	v_mov_b32_e32 v5, v65
	v_cmpx_ne_u32_e32 0, v42
	s_xor_b32 s8, exec_lo, s8
; %bb.165:                              ;   in Loop: Header=BB0_85 Depth=2
	s_delay_alu instid0(VALU_DEP_2) | instskip(SKIP_2) | instid1(VALU_DEP_2)
	v_cmp_lt_u64_e32 vcc_lo, 0xffffff, v[4:5]
	v_add_nc_u32_e32 v116, 15, v117
	v_cndmask_b32_e64 v117, 0, 1, vcc_lo
	v_cndmask_b32_e32 v116, v42, v116, vcc_lo
	s_delay_alu instid0(VALU_DEP_2)
	v_lshrrev_b64 v[4:5], v117, v[4:5]
; %bb.166:                              ;   in Loop: Header=BB0_85 Depth=2
	s_and_not1_saveexec_b32 s8, s8
; %bb.167:                              ;   in Loop: Header=BB0_85 Depth=2
	s_delay_alu instid0(VALU_DEP_1)
	v_bfe_u32 v116, v4, 23, 1
; %bb.168:                              ;   in Loop: Header=BB0_85 Depth=2
	s_or_b32 exec_lo, exec_lo, s8
	s_delay_alu instid0(VALU_DEP_2) | instskip(NEXT) | instid1(VALU_DEP_2)
	v_lshrrev_b64 v[4:5], 21, v[4:5]
	v_cmp_gt_i32_e32 vcc_lo, 32, v116
	v_min_i32_e32 v117, 31, v116
	v_cmp_eq_u32_e64 s8, 0, v116
	s_delay_alu instid0(VALU_DEP_4) | instskip(NEXT) | instid1(VALU_DEP_3)
	v_cndmask_b32_e32 v5, 0, v5, vcc_lo
	v_dual_cndmask_b32 v4, 3, v4 :: v_dual_lshlrev_b32 v117, 2, v117
	s_delay_alu instid0(VALU_DEP_1) | instskip(NEXT) | instid1(VALU_DEP_2)
	v_and_b32_e32 v117, 0xfc, v117
	v_cmp_eq_u64_e32 vcc_lo, 0, v[4:5]
	s_delay_alu instid0(VALU_DEP_2)
	v_and_or_b32 v4, v4, 3, v117
	s_and_b32 s8, s8, vcc_lo
	s_delay_alu instid0(VALU_DEP_1) | instid1(SALU_CYCLE_1)
	v_cndmask_b32_e64 v4, v4, 0, s8
	s_delay_alu instid0(VALU_DEP_1)
	v_or_b32_e32 v42, v4, v2
.LBB0_169:                              ;   in Loop: Header=BB0_85 Depth=2
	s_or_b32 exec_lo, exec_lo, s22
                                        ; implicit-def: $vgpr2
.LBB0_170:                              ;   in Loop: Header=BB0_85 Depth=2
	s_and_not1_saveexec_b32 s8, s21
; %bb.171:                              ;   in Loop: Header=BB0_85 Depth=2
	v_or_b32_e32 v42, 0x7b, v2
; %bb.172:                              ;   in Loop: Header=BB0_85 Depth=2
	s_or_b32 exec_lo, exec_lo, s8
                                        ; implicit-def: $vgpr116
                                        ; implicit-def: $vgpr4_vgpr5
                                        ; implicit-def: $vgpr2
.LBB0_173:                              ;   in Loop: Header=BB0_85 Depth=2
	s_and_not1_saveexec_b32 s8, s20
	s_cbranch_execz .LBB0_179
; %bb.174:                              ;   in Loop: Header=BB0_85 Depth=2
	s_mov_b32 s20, exec_lo
                                        ; implicit-def: $vgpr42
	v_cmpx_ne_u64_e32 0, v[4:5]
	s_xor_b32 s20, exec_lo, s20
; %bb.175:                              ;   in Loop: Header=BB0_85 Depth=2
	v_or_b32_e32 v42, 0x7f, v2
                                        ; implicit-def: $vgpr116
; %bb.176:                              ;   in Loop: Header=BB0_85 Depth=2
	s_and_not1_saveexec_b32 s20, s20
; %bb.177:                              ;   in Loop: Header=BB0_85 Depth=2
	v_cmp_lt_i32_e32 vcc_lo, -1, v116
	v_cndmask_b32_e32 v42, 0xfc, v59, vcc_lo
; %bb.178:                              ;   in Loop: Header=BB0_85 Depth=2
	s_or_b32 exec_lo, exec_lo, s20
.LBB0_179:                              ;   in Loop: Header=BB0_85 Depth=2
	s_delay_alu instid0(SALU_CYCLE_1)
	s_or_b32 exec_lo, exec_lo, s8
	v_mov_b32_e32 v4, 0
	s_mov_b32 s8, exec_lo
	v_cmpx_lt_u32_e32 0xffffff, v64
	s_cbranch_execz .LBB0_189
; %bb.180:                              ;   in Loop: Header=BB0_85 Depth=2
	v_lshrrev_b32_e32 v2, 24, v64
	v_bfrev_b32_e32 v4, 1
	s_mov_b32 s20, exec_lo
	s_delay_alu instid0(VALU_DEP_2)
	v_cmpx_ne_u32_e32 0x80, v2
	s_cbranch_execz .LBB0_188
; %bb.181:                              ;   in Loop: Header=BB0_85 Depth=2
	v_and_b32_e32 v4, 0x7c000000, v64
	v_bfe_u32 v5, v64, 24, 2
	s_delay_alu instid0(VALU_DEP_2) | instskip(SKIP_1) | instid1(SALU_CYCLE_1)
	v_cmp_ne_u32_e32 vcc_lo, 0x7c000000, v4
                                        ; implicit-def: $vgpr4
	s_and_saveexec_b32 s21, vcc_lo
	s_xor_b32 s21, exec_lo, s21
	s_cbranch_execz .LBB0_185
; %bb.182:                              ;   in Loop: Header=BB0_85 Depth=2
	v_bfe_u32 v4, v64, 26, 5
	s_mov_b32 s22, exec_lo
	s_delay_alu instid0(VALU_DEP_1)
	v_cmpx_eq_u32_e32 0, v4
; %bb.183:                              ;   in Loop: Header=BB0_85 Depth=2
	v_clz_i32_u32_e32 v4, v5
	s_delay_alu instid0(VALU_DEP_1) | instskip(NEXT) | instid1(VALU_DEP_1)
	v_min_u32_e32 v4, 32, v4
	v_subrev_nc_u32_e32 v5, 29, v4
	v_sub_nc_u32_e32 v4, 30, v4
	s_delay_alu instid0(VALU_DEP_2) | instskip(NEXT) | instid1(VALU_DEP_1)
	v_lshlrev_b64_e32 v[116:117], v5, v[2:3]
	v_and_b32_e32 v5, 3, v116
; %bb.184:                              ;   in Loop: Header=BB0_85 Depth=2
	s_or_b32 exec_lo, exec_lo, s22
	v_and_b32_e32 v2, 0x80000000, v64
	s_delay_alu instid0(VALU_DEP_1) | instskip(NEXT) | instid1(VALU_DEP_1)
	v_lshl_add_u32 v2, v4, 23, v2
	v_lshl_or_b32 v2, v5, 21, v2
                                        ; implicit-def: $vgpr5
	s_delay_alu instid0(VALU_DEP_1)
	v_add_nc_u32_e32 v4, 0x38000000, v2
.LBB0_185:                              ;   in Loop: Header=BB0_85 Depth=2
	s_and_not1_saveexec_b32 s21, s21
; %bb.186:                              ;   in Loop: Header=BB0_85 Depth=2
	v_cmp_lt_i32_e32 vcc_lo, -1, v64
	v_cndmask_b32_e32 v2, 0xff800000, v21, vcc_lo
	v_cmp_eq_u32_e32 vcc_lo, 0, v5
	s_delay_alu instid0(VALU_DEP_2)
	v_cndmask_b32_e32 v4, 0x7f800001, v2, vcc_lo
; %bb.187:                              ;   in Loop: Header=BB0_85 Depth=2
	s_or_b32 exec_lo, exec_lo, s21
.LBB0_188:                              ;   in Loop: Header=BB0_85 Depth=2
	s_delay_alu instid0(SALU_CYCLE_1)
	s_or_b32 exec_lo, exec_lo, s20
.LBB0_189:                              ;   in Loop: Header=BB0_85 Depth=2
	s_delay_alu instid0(SALU_CYCLE_1) | instskip(NEXT) | instid1(VALU_DEP_1)
	s_or_b32 exec_lo, exec_lo, s8
	v_dual_mul_f32 v4, v56, v4 :: v_dual_mov_b32 v117, v65
                                        ; implicit-def: $vgpr43
	s_mov_b32 s8, exec_lo
	s_delay_alu instid0(VALU_DEP_1) | instskip(SKIP_2) | instid1(VALU_DEP_3)
	v_and_b32_e32 v116, 0x7f800000, v4
	v_and_b32_e32 v64, 0x7fffff, v4
	v_lshrrev_b32_e32 v2, 24, v4
	v_cmpx_ne_u64_e32 0x7f800000, v[116:117]
	s_xor_b32 s20, exec_lo, s8
	s_cbranch_execz .LBB0_203
; %bb.190:                              ;   in Loop: Header=BB0_85 Depth=2
	v_and_b32_e32 v116, 0x7fffffff, v4
	v_mov_b32_e32 v117, v65
	v_and_b32_e32 v2, 0x80, v2
                                        ; implicit-def: $vgpr43
	s_mov_b32 s8, exec_lo
	s_delay_alu instid0(VALU_DEP_2)
	v_cmpx_gt_u64_e32 0x47600001, v[116:117]
	s_xor_b32 s21, exec_lo, s8
	s_cbranch_execz .LBB0_200
; %bb.191:                              ;   in Loop: Header=BB0_85 Depth=2
	v_mov_b32_e32 v43, 0
	s_mov_b32 s22, exec_lo
	v_cmpx_ne_u32_e32 0, v4
	s_cbranch_execz .LBB0_199
; %bb.192:                              ;   in Loop: Header=BB0_85 Depth=2
	v_bfe_u32 v43, v4, 23, 8
	v_or_b32_e32 v116, 0x800000, v64
	s_delay_alu instid0(VALU_DEP_2) | instskip(SKIP_1) | instid1(VALU_DEP_2)
	v_sub_nc_u32_e32 v4, 0x71, v43
	v_cmp_gt_u32_e32 vcc_lo, 0x72, v43
	v_cndmask_b32_e32 v4, 0, v4, vcc_lo
	v_cmp_eq_u32_e32 vcc_lo, 0, v43
	s_delay_alu instid0(VALU_DEP_2) | instskip(NEXT) | instid1(VALU_DEP_1)
	v_cndmask_b32_e64 v46, v4, 0x70, vcc_lo
	v_dual_cndmask_b32 v64, v116, v64, vcc_lo :: v_dual_add_nc_u32 v4, 21, v46
	v_add_nc_u32_e32 v117, 20, v46
	s_delay_alu instid0(VALU_DEP_2) | instskip(NEXT) | instid1(VALU_DEP_2)
	v_lshlrev_b64_e64 v[4:5], v4, -1
	v_lshlrev_b64_e64 v[116:117], v117, 1
	s_delay_alu instid0(VALU_DEP_2) | instskip(NEXT) | instid1(VALU_DEP_3)
	v_bfi_b32 v63, v5, 0, 0
	v_bfi_b32 v62, v4, 0, v64
	v_lshrrev_b64 v[4:5], v46, v[64:65]
	s_delay_alu instid0(VALU_DEP_2) | instskip(NEXT) | instid1(VALU_DEP_2)
	v_cmp_eq_u64_e64 s8, v[62:63], v[116:117]
	v_mov_b64_e32 v[116:117], v[4:5]
	s_and_saveexec_b32 s23, s8
; %bb.193:                              ;   in Loop: Header=BB0_85 Depth=2
	v_bfe_u32 v64, v4, 21, 1
	s_delay_alu instid0(VALU_DEP_1) | instskip(NEXT) | instid1(VALU_DEP_1)
	v_add_nc_u64_e32 v[116:117], v[4:5], v[64:65]
	v_add_nc_u64_e32 v[116:117], -1, v[116:117]
; %bb.194:                              ;   in Loop: Header=BB0_85 Depth=2
	s_or_b32 exec_lo, exec_lo, s23
	v_add_nc_u32_e32 v5, 0xffffff81, v43
	v_lshrrev_b32_e32 v64, 23, v4
	s_mov_b32 s8, exec_lo
	s_delay_alu instid0(VALU_DEP_2) | instskip(NEXT) | instid1(VALU_DEP_1)
	v_cndmask_b32_e64 v5, v5, 0xffffff82, vcc_lo
	v_add3_u32 v117, v46, v5, v64
	v_and_b32_e32 v5, 0x1fffff, v116
                                        ; implicit-def: $vgpr116
	s_delay_alu instid0(VALU_DEP_1) | instskip(NEXT) | instid1(VALU_DEP_1)
	v_dual_add_nc_u32 v43, 14, v117 :: v_dual_add_nc_u32 v64, v5, v4
                                        ; implicit-def: $vgpr4_vgpr5
	v_cmpx_ne_u32_e32 0, v43
	s_xor_b32 s8, exec_lo, s8
; %bb.195:                              ;   in Loop: Header=BB0_85 Depth=2
	s_delay_alu instid0(VALU_DEP_2) | instskip(SKIP_1) | instid1(VALU_DEP_1)
	v_cmp_lt_u64_e32 vcc_lo, 0xffffff, v[64:65]
	v_add_nc_u32_e32 v4, 15, v117
	v_cndmask_b32_e32 v116, v43, v4, vcc_lo
	v_cndmask_b32_e64 v4, 0, 1, vcc_lo
	s_delay_alu instid0(VALU_DEP_1)
	v_lshrrev_b64 v[4:5], v4, v[64:65]
; %bb.196:                              ;   in Loop: Header=BB0_85 Depth=2
	s_and_not1_saveexec_b32 s8, s8
; %bb.197:                              ;   in Loop: Header=BB0_85 Depth=2
	v_mov_b64_e32 v[4:5], v[64:65]
	v_bfe_u32 v116, v64, 23, 1
; %bb.198:                              ;   in Loop: Header=BB0_85 Depth=2
	s_or_b32 exec_lo, exec_lo, s8
	s_delay_alu instid0(VALU_DEP_2) | instskip(NEXT) | instid1(VALU_DEP_2)
	v_lshrrev_b64 v[4:5], 21, v[4:5]
	v_cmp_gt_i32_e32 vcc_lo, 32, v116
	v_min_i32_e32 v64, 31, v116
	v_cmp_eq_u32_e64 s8, 0, v116
	s_delay_alu instid0(VALU_DEP_2) | instskip(SKIP_1) | instid1(VALU_DEP_2)
	v_dual_cndmask_b32 v5, 0, v5 :: v_dual_lshlrev_b32 v64, 2, v64
	v_cndmask_b32_e32 v4, 3, v4, vcc_lo
	v_and_b32_e32 v64, 0xfc, v64
	s_delay_alu instid0(VALU_DEP_2) | instskip(NEXT) | instid1(VALU_DEP_2)
	v_cmp_eq_u64_e32 vcc_lo, 0, v[4:5]
	v_and_or_b32 v4, v4, 3, v64
	s_and_b32 s8, s8, vcc_lo
	s_delay_alu instid0(VALU_DEP_1) | instid1(SALU_CYCLE_1)
	v_cndmask_b32_e64 v4, v4, 0, s8
	s_delay_alu instid0(VALU_DEP_1)
	v_or_b32_e32 v43, v4, v2
.LBB0_199:                              ;   in Loop: Header=BB0_85 Depth=2
	s_or_b32 exec_lo, exec_lo, s22
                                        ; implicit-def: $vgpr2
.LBB0_200:                              ;   in Loop: Header=BB0_85 Depth=2
	s_and_not1_saveexec_b32 s8, s21
; %bb.201:                              ;   in Loop: Header=BB0_85 Depth=2
	v_or_b32_e32 v43, 0x7b, v2
; %bb.202:                              ;   in Loop: Header=BB0_85 Depth=2
	s_or_b32 exec_lo, exec_lo, s8
                                        ; implicit-def: $vgpr4
                                        ; implicit-def: $vgpr2
.LBB0_203:                              ;   in Loop: Header=BB0_85 Depth=2
	s_and_not1_saveexec_b32 s8, s20
	s_cbranch_execz .LBB0_209
; %bb.204:                              ;   in Loop: Header=BB0_85 Depth=2
	s_mov_b32 s20, exec_lo
                                        ; implicit-def: $vgpr43
	v_cmpx_ne_u64_e32 0, v[64:65]
	s_xor_b32 s20, exec_lo, s20
; %bb.205:                              ;   in Loop: Header=BB0_85 Depth=2
	v_or_b32_e32 v43, 0x7f, v2
                                        ; implicit-def: $vgpr4
; %bb.206:                              ;   in Loop: Header=BB0_85 Depth=2
	s_and_not1_saveexec_b32 s20, s20
; %bb.207:                              ;   in Loop: Header=BB0_85 Depth=2
	v_cmp_lt_i32_e32 vcc_lo, -1, v4
	v_cndmask_b32_e32 v43, 0xfc, v59, vcc_lo
; %bb.208:                              ;   in Loop: Header=BB0_85 Depth=2
	s_or_b32 exec_lo, exec_lo, s20
.LBB0_209:                              ;   in Loop: Header=BB0_85 Depth=2
	s_delay_alu instid0(SALU_CYCLE_1) | instskip(SKIP_1) | instid1(VALU_DEP_1)
	s_or_b32 exec_lo, exec_lo, s8
	v_alignbit_b32 v64, v44, v45, v118
	v_and_b32_e32 v2, 0xff, v64
	s_delay_alu instid0(VALU_DEP_1)
	v_cmp_ne_u16_e32 vcc_lo, 0, v2
	v_mov_b32_e32 v2, 0
	s_and_saveexec_b32 s8, vcc_lo
	s_cbranch_execz .LBB0_219
; %bb.210:                              ;   in Loop: Header=BB0_85 Depth=2
	v_bfe_i32 v5, v64, 0, 8
	v_bfrev_b32_e32 v2, 1
	s_mov_b32 s20, exec_lo
	s_delay_alu instid0(VALU_DEP_2)
	v_cmpx_ne_u16_e32 0xff80, v5
	s_cbranch_execz .LBB0_218
; %bb.211:                              ;   in Loop: Header=BB0_85 Depth=2
	v_and_b32_e32 v2, 0x7c, v64
	v_and_b32_e32 v4, 3, v64
	s_delay_alu instid0(VALU_DEP_2) | instskip(SKIP_1) | instid1(SALU_CYCLE_1)
	v_cmp_ne_u32_e32 vcc_lo, 0x7c, v2
                                        ; implicit-def: $vgpr2
	s_and_saveexec_b32 s21, vcc_lo
	s_xor_b32 s21, exec_lo, s21
	s_cbranch_execz .LBB0_215
; %bb.212:                              ;   in Loop: Header=BB0_85 Depth=2
	v_bfe_u32 v2, v64, 2, 5
	s_mov_b32 s22, exec_lo
	s_delay_alu instid0(VALU_DEP_1)
	v_cmpx_eq_u32_e32 0, v2
; %bb.213:                              ;   in Loop: Header=BB0_85 Depth=2
	v_clz_i32_u32_e32 v2, v4
	s_delay_alu instid0(VALU_DEP_1) | instskip(NEXT) | instid1(VALU_DEP_1)
	v_min_u32_e32 v2, 32, v2
	v_subrev_nc_u32_e32 v4, 29, v2
	s_delay_alu instid0(VALU_DEP_1) | instskip(NEXT) | instid1(VALU_DEP_1)
	v_lshlrev_b64_e32 v[4:5], v4, v[64:65]
	v_dual_sub_nc_u32 v2, 30, v2 :: v_dual_bitop2_b32 v4, 3, v4 bitop3:0x40
; %bb.214:                              ;   in Loop: Header=BB0_85 Depth=2
	s_or_b32 exec_lo, exec_lo, s22
	v_lshlrev_b32_e32 v5, 24, v64
	s_delay_alu instid0(VALU_DEP_1) | instskip(NEXT) | instid1(VALU_DEP_1)
	v_and_b32_e32 v5, 0x80000000, v5
	v_lshl_add_u32 v2, v2, 23, v5
                                        ; implicit-def: $vgpr5
	s_delay_alu instid0(VALU_DEP_1) | instskip(NEXT) | instid1(VALU_DEP_1)
	v_lshl_or_b32 v2, v4, 21, v2
                                        ; implicit-def: $vgpr4
	v_add_nc_u32_e32 v2, 0x38000000, v2
.LBB0_215:                              ;   in Loop: Header=BB0_85 Depth=2
	s_and_not1_saveexec_b32 s21, s21
; %bb.216:                              ;   in Loop: Header=BB0_85 Depth=2
	v_cmp_lt_i16_e32 vcc_lo, -1, v5
	v_cndmask_b32_e32 v2, 0xff800000, v21, vcc_lo
	v_cmp_eq_u32_e32 vcc_lo, 0, v4
	s_delay_alu instid0(VALU_DEP_2)
	v_cndmask_b32_e32 v2, 0x7f800001, v2, vcc_lo
; %bb.217:                              ;   in Loop: Header=BB0_85 Depth=2
	s_or_b32 exec_lo, exec_lo, s21
.LBB0_218:                              ;   in Loop: Header=BB0_85 Depth=2
	s_delay_alu instid0(SALU_CYCLE_1)
	s_or_b32 exec_lo, exec_lo, s20
.LBB0_219:                              ;   in Loop: Header=BB0_85 Depth=2
	s_delay_alu instid0(SALU_CYCLE_1) | instskip(NEXT) | instid1(VALU_DEP_1)
	s_or_b32 exec_lo, exec_lo, s8
	v_dual_mul_f32 v116, v56, v2 :: v_dual_mov_b32 v45, v65
	s_delay_alu instid0(VALU_DEP_1) | instskip(SKIP_2) | instid1(VALU_DEP_2)
	v_dual_mov_b32 v5, v65 :: v_dual_lshrrev_b32 v2, 24, v116
	v_and_b32_e32 v44, 0x7f800000, v116
	v_and_b32_e32 v4, 0x7fffff, v116
	v_cmp_ne_u64_e32 vcc_lo, 0x7f800000, v[44:45]
                                        ; implicit-def: $vgpr44
	s_and_saveexec_b32 s8, vcc_lo
	s_delay_alu instid0(SALU_CYCLE_1)
	s_xor_b32 s20, exec_lo, s8
	s_cbranch_execz .LBB0_233
; %bb.220:                              ;   in Loop: Header=BB0_85 Depth=2
	v_and_b32_e32 v44, 0x7fffffff, v116
	v_mov_b32_e32 v45, v65
	v_and_b32_e32 v2, 0x80, v2
	s_delay_alu instid0(VALU_DEP_2) | instskip(SKIP_1) | instid1(SALU_CYCLE_1)
	v_cmp_gt_u64_e32 vcc_lo, 0x47600001, v[44:45]
                                        ; implicit-def: $vgpr44
	s_and_saveexec_b32 s8, vcc_lo
	s_xor_b32 s21, exec_lo, s8
	s_cbranch_execz .LBB0_230
; %bb.221:                              ;   in Loop: Header=BB0_85 Depth=2
	v_mov_b32_e32 v44, 0
	s_mov_b32 s22, exec_lo
	v_cmpx_ne_u32_e32 0, v116
	s_cbranch_execz .LBB0_229
; %bb.222:                              ;   in Loop: Header=BB0_85 Depth=2
	v_bfe_u32 v44, v116, 23, 8
	v_or_b32_e32 v46, 0x800000, v4
	s_delay_alu instid0(VALU_DEP_2) | instskip(SKIP_1) | instid1(VALU_DEP_2)
	v_sub_nc_u32_e32 v116, 0x71, v44
	v_cmp_gt_u32_e32 vcc_lo, 0x72, v44
	v_cndmask_b32_e32 v116, 0, v116, vcc_lo
	v_cmp_eq_u32_e32 vcc_lo, 0, v44
	s_delay_alu instid0(VALU_DEP_2) | instskip(NEXT) | instid1(VALU_DEP_1)
	v_cndmask_b32_e64 v45, v116, 0x70, vcc_lo
	v_dual_cndmask_b32 v4, v46, v4, vcc_lo :: v_dual_add_nc_u32 v116, 21, v45
	v_add_nc_u32_e32 v47, 20, v45
	s_delay_alu instid0(VALU_DEP_2) | instskip(NEXT) | instid1(VALU_DEP_2)
	v_lshlrev_b64_e64 v[116:117], v116, -1
	v_lshlrev_b64_e64 v[46:47], v47, 1
	s_delay_alu instid0(VALU_DEP_2) | instskip(SKIP_1) | instid1(VALU_DEP_4)
	v_bfi_b32 v116, v116, 0, v4
	v_lshrrev_b64 v[4:5], v45, v[4:5]
	v_bfi_b32 v117, v117, 0, 0
	s_delay_alu instid0(VALU_DEP_1) | instskip(NEXT) | instid1(VALU_DEP_3)
	v_cmp_eq_u64_e64 s8, v[116:117], v[46:47]
	v_mov_b64_e32 v[116:117], v[4:5]
	s_and_saveexec_b32 s23, s8
; %bb.223:                              ;   in Loop: Header=BB0_85 Depth=2
	v_bfe_u32 v116, v4, 21, 1
	v_mov_b32_e32 v117, v65
	s_delay_alu instid0(VALU_DEP_1) | instskip(NEXT) | instid1(VALU_DEP_1)
	v_add_nc_u64_e32 v[116:117], v[4:5], v[116:117]
	v_add_nc_u64_e32 v[116:117], -1, v[116:117]
; %bb.224:                              ;   in Loop: Header=BB0_85 Depth=2
	s_or_b32 exec_lo, exec_lo, s23
	v_add_nc_u32_e32 v5, 0xffffff81, v44
	v_lshrrev_b32_e32 v117, 23, v4
	s_mov_b32 s8, exec_lo
	s_delay_alu instid0(VALU_DEP_2) | instskip(NEXT) | instid1(VALU_DEP_1)
	v_cndmask_b32_e64 v5, v5, 0xffffff82, vcc_lo
	v_add3_u32 v117, v45, v5, v117
	v_and_b32_e32 v5, 0x1fffff, v116
                                        ; implicit-def: $vgpr116
	s_delay_alu instid0(VALU_DEP_1) | instskip(SKIP_1) | instid1(VALU_DEP_2)
	v_dual_add_nc_u32 v44, 14, v117 :: v_dual_add_nc_u32 v4, v5, v4
	v_mov_b32_e32 v5, v65
	v_cmpx_ne_u32_e32 0, v44
	s_xor_b32 s8, exec_lo, s8
; %bb.225:                              ;   in Loop: Header=BB0_85 Depth=2
	s_delay_alu instid0(VALU_DEP_2) | instskip(SKIP_2) | instid1(VALU_DEP_2)
	v_cmp_lt_u64_e32 vcc_lo, 0xffffff, v[4:5]
	v_add_nc_u32_e32 v116, 15, v117
	v_cndmask_b32_e64 v117, 0, 1, vcc_lo
	v_cndmask_b32_e32 v116, v44, v116, vcc_lo
	s_delay_alu instid0(VALU_DEP_2)
	v_lshrrev_b64 v[4:5], v117, v[4:5]
; %bb.226:                              ;   in Loop: Header=BB0_85 Depth=2
	s_and_not1_saveexec_b32 s8, s8
; %bb.227:                              ;   in Loop: Header=BB0_85 Depth=2
	s_delay_alu instid0(VALU_DEP_1)
	v_bfe_u32 v116, v4, 23, 1
; %bb.228:                              ;   in Loop: Header=BB0_85 Depth=2
	s_or_b32 exec_lo, exec_lo, s8
	s_delay_alu instid0(VALU_DEP_2) | instskip(NEXT) | instid1(VALU_DEP_2)
	v_lshrrev_b64 v[4:5], 21, v[4:5]
	v_cmp_gt_i32_e32 vcc_lo, 32, v116
	v_min_i32_e32 v117, 31, v116
	v_cmp_eq_u32_e64 s8, 0, v116
	s_delay_alu instid0(VALU_DEP_4) | instskip(NEXT) | instid1(VALU_DEP_3)
	v_cndmask_b32_e32 v5, 0, v5, vcc_lo
	v_dual_cndmask_b32 v4, 3, v4 :: v_dual_lshlrev_b32 v117, 2, v117
	s_delay_alu instid0(VALU_DEP_1) | instskip(NEXT) | instid1(VALU_DEP_2)
	v_and_b32_e32 v117, 0xfc, v117
	v_cmp_eq_u64_e32 vcc_lo, 0, v[4:5]
	s_delay_alu instid0(VALU_DEP_2)
	v_and_or_b32 v4, v4, 3, v117
	s_and_b32 s8, s8, vcc_lo
	s_delay_alu instid0(VALU_DEP_1) | instid1(SALU_CYCLE_1)
	v_cndmask_b32_e64 v4, v4, 0, s8
	s_delay_alu instid0(VALU_DEP_1)
	v_or_b32_e32 v44, v4, v2
.LBB0_229:                              ;   in Loop: Header=BB0_85 Depth=2
	s_or_b32 exec_lo, exec_lo, s22
                                        ; implicit-def: $vgpr2
.LBB0_230:                              ;   in Loop: Header=BB0_85 Depth=2
	s_and_not1_saveexec_b32 s8, s21
; %bb.231:                              ;   in Loop: Header=BB0_85 Depth=2
	v_or_b32_e32 v44, 0x7b, v2
; %bb.232:                              ;   in Loop: Header=BB0_85 Depth=2
	s_or_b32 exec_lo, exec_lo, s8
                                        ; implicit-def: $vgpr116
                                        ; implicit-def: $vgpr4_vgpr5
                                        ; implicit-def: $vgpr2
.LBB0_233:                              ;   in Loop: Header=BB0_85 Depth=2
	s_and_not1_saveexec_b32 s8, s20
	s_cbranch_execz .LBB0_239
; %bb.234:                              ;   in Loop: Header=BB0_85 Depth=2
	s_mov_b32 s20, exec_lo
                                        ; implicit-def: $vgpr44
	v_cmpx_ne_u64_e32 0, v[4:5]
	s_xor_b32 s20, exec_lo, s20
; %bb.235:                              ;   in Loop: Header=BB0_85 Depth=2
	v_or_b32_e32 v44, 0x7f, v2
                                        ; implicit-def: $vgpr116
; %bb.236:                              ;   in Loop: Header=BB0_85 Depth=2
	s_and_not1_saveexec_b32 s20, s20
; %bb.237:                              ;   in Loop: Header=BB0_85 Depth=2
	v_cmp_lt_i32_e32 vcc_lo, -1, v116
	v_cndmask_b32_e32 v44, 0xfc, v59, vcc_lo
; %bb.238:                              ;   in Loop: Header=BB0_85 Depth=2
	s_or_b32 exec_lo, exec_lo, s20
.LBB0_239:                              ;   in Loop: Header=BB0_85 Depth=2
	s_delay_alu instid0(SALU_CYCLE_1) | instskip(SKIP_3) | instid1(VALU_DEP_2)
	s_or_b32 exec_lo, exec_lo, s8
	v_lshrrev_b16 v4, 8, v64
	v_mov_b32_e32 v5, 0
	s_mov_b32 s8, exec_lo
	v_cmpx_ne_u16_e32 0, v4
	s_cbranch_execz .LBB0_249
; %bb.240:                              ;   in Loop: Header=BB0_85 Depth=2
	v_bfrev_b32_e32 v5, 1
	s_mov_b32 s20, exec_lo
	v_cmpx_ne_u16_e32 0x80, v4
	s_cbranch_execz .LBB0_248
; %bb.241:                              ;   in Loop: Header=BB0_85 Depth=2
	v_and_b32_e32 v116, 0xffff, v4
	s_delay_alu instid0(VALU_DEP_1) | instskip(SKIP_1) | instid1(VALU_DEP_2)
	v_and_b32_e32 v5, 0x7c, v116
	v_and_b32_e32 v2, 3, v116
	v_cmp_ne_u32_e32 vcc_lo, 0x7c, v5
                                        ; implicit-def: $vgpr5
	s_and_saveexec_b32 s21, vcc_lo
	s_delay_alu instid0(SALU_CYCLE_1)
	s_xor_b32 s21, exec_lo, s21
	s_cbranch_execz .LBB0_245
; %bb.242:                              ;   in Loop: Header=BB0_85 Depth=2
	v_bfe_u32 v5, v116, 2, 5
	s_mov_b32 s22, exec_lo
	s_delay_alu instid0(VALU_DEP_1)
	v_cmpx_eq_u32_e32 0, v5
; %bb.243:                              ;   in Loop: Header=BB0_85 Depth=2
	v_clz_i32_u32_e32 v2, v2
	v_mov_b32_e32 v5, v65
	s_delay_alu instid0(VALU_DEP_2) | instskip(NEXT) | instid1(VALU_DEP_1)
	v_min_u32_e32 v2, 32, v2
	v_subrev_nc_u32_e32 v116, 29, v2
	s_delay_alu instid0(VALU_DEP_1) | instskip(NEXT) | instid1(VALU_DEP_1)
	v_lshlrev_b64_e32 v[4:5], v116, v[4:5]
	v_dual_sub_nc_u32 v5, 30, v2 :: v_dual_bitop2_b32 v2, 3, v4 bitop3:0x40
; %bb.244:                              ;   in Loop: Header=BB0_85 Depth=2
	s_or_b32 exec_lo, exec_lo, s22
	v_lshlrev_b32_e32 v4, 16, v64
	s_delay_alu instid0(VALU_DEP_1) | instskip(NEXT) | instid1(VALU_DEP_1)
	v_and_b32_e32 v4, 0x80000000, v4
	v_lshl_add_u32 v4, v5, 23, v4
	s_delay_alu instid0(VALU_DEP_1) | instskip(NEXT) | instid1(VALU_DEP_1)
	v_lshl_or_b32 v2, v2, 21, v4
	v_add_nc_u32_e32 v5, 0x38000000, v2
                                        ; implicit-def: $vgpr2
.LBB0_245:                              ;   in Loop: Header=BB0_85 Depth=2
	s_and_not1_saveexec_b32 s21, s21
; %bb.246:                              ;   in Loop: Header=BB0_85 Depth=2
	v_cmp_lt_i16_e32 vcc_lo, -1, v64
	v_cndmask_b32_e32 v4, 0xff800000, v21, vcc_lo
	v_cmp_eq_u32_e32 vcc_lo, 0, v2
	s_delay_alu instid0(VALU_DEP_2)
	v_cndmask_b32_e32 v5, 0x7f800001, v4, vcc_lo
; %bb.247:                              ;   in Loop: Header=BB0_85 Depth=2
	s_or_b32 exec_lo, exec_lo, s21
.LBB0_248:                              ;   in Loop: Header=BB0_85 Depth=2
	s_delay_alu instid0(SALU_CYCLE_1)
	s_or_b32 exec_lo, exec_lo, s20
.LBB0_249:                              ;   in Loop: Header=BB0_85 Depth=2
	s_delay_alu instid0(SALU_CYCLE_1) | instskip(NEXT) | instid1(VALU_DEP_1)
	s_or_b32 exec_lo, exec_lo, s8
	v_dual_mul_f32 v116, v56, v5 :: v_dual_mov_b32 v47, v65
	v_mov_b32_e32 v5, v65
                                        ; implicit-def: $vgpr45
	s_mov_b32 s8, exec_lo
	s_delay_alu instid0(VALU_DEP_2) | instskip(SKIP_2) | instid1(VALU_DEP_3)
	v_and_b32_e32 v46, 0x7f800000, v116
	v_and_b32_e32 v4, 0x7fffff, v116
	v_lshrrev_b32_e32 v2, 24, v116
	v_cmpx_ne_u64_e32 0x7f800000, v[46:47]
	s_xor_b32 s20, exec_lo, s8
	s_cbranch_execz .LBB0_263
; %bb.250:                              ;   in Loop: Header=BB0_85 Depth=2
	v_and_b32_e32 v46, 0x7fffffff, v116
	v_mov_b32_e32 v47, v65
	v_and_b32_e32 v2, 0x80, v2
                                        ; implicit-def: $vgpr45
	s_mov_b32 s8, exec_lo
	s_delay_alu instid0(VALU_DEP_2)
	v_cmpx_gt_u64_e32 0x47600001, v[46:47]
	s_xor_b32 s21, exec_lo, s8
	s_cbranch_execz .LBB0_260
; %bb.251:                              ;   in Loop: Header=BB0_85 Depth=2
	v_mov_b32_e32 v45, 0
	s_mov_b32 s22, exec_lo
	v_cmpx_ne_u32_e32 0, v116
	s_cbranch_execz .LBB0_259
; %bb.252:                              ;   in Loop: Header=BB0_85 Depth=2
	v_bfe_u32 v45, v116, 23, 8
	v_or_b32_e32 v117, 0x800000, v4
	s_delay_alu instid0(VALU_DEP_2) | instskip(SKIP_2) | instid1(VALU_DEP_2)
	v_cmp_gt_u32_e64 s8, 0x72, v45
	v_sub_nc_u32_e32 v116, 0x71, v45
	v_cmp_eq_u32_e32 vcc_lo, 0, v45
	v_cndmask_b32_e64 v116, 0, v116, s8
	s_delay_alu instid0(VALU_DEP_1) | instskip(NEXT) | instid1(VALU_DEP_1)
	v_cndmask_b32_e64 v46, v116, 0x70, vcc_lo
	v_dual_cndmask_b32 v4, v117, v4, vcc_lo :: v_dual_add_nc_u32 v116, 21, v46
	v_add_nc_u32_e32 v47, 20, v46
	s_delay_alu instid0(VALU_DEP_2) | instskip(NEXT) | instid1(VALU_DEP_2)
	v_lshlrev_b64_e64 v[116:117], v116, -1
	v_lshlrev_b64_e64 v[62:63], v47, 1
	s_delay_alu instid0(VALU_DEP_2) | instskip(SKIP_1) | instid1(VALU_DEP_4)
	v_bfi_b32 v116, v116, 0, v4
	v_lshrrev_b64 v[4:5], v46, v[4:5]
	v_bfi_b32 v117, v117, 0, 0
	s_delay_alu instid0(VALU_DEP_1) | instskip(NEXT) | instid1(VALU_DEP_3)
	v_cmp_eq_u64_e64 s8, v[116:117], v[62:63]
	v_mov_b64_e32 v[116:117], v[4:5]
	s_and_saveexec_b32 s23, s8
; %bb.253:                              ;   in Loop: Header=BB0_85 Depth=2
	v_bfe_u32 v116, v4, 21, 1
	v_mov_b32_e32 v117, v65
	s_delay_alu instid0(VALU_DEP_1) | instskip(NEXT) | instid1(VALU_DEP_1)
	v_add_nc_u64_e32 v[116:117], v[4:5], v[116:117]
	v_add_nc_u64_e32 v[116:117], -1, v[116:117]
; %bb.254:                              ;   in Loop: Header=BB0_85 Depth=2
	s_or_b32 exec_lo, exec_lo, s23
	v_add_nc_u32_e32 v5, 0xffffff81, v45
	v_lshrrev_b32_e32 v117, 23, v4
	s_mov_b32 s8, exec_lo
	s_delay_alu instid0(VALU_DEP_2) | instskip(NEXT) | instid1(VALU_DEP_1)
	v_cndmask_b32_e64 v5, v5, 0xffffff82, vcc_lo
	v_add3_u32 v117, v46, v5, v117
	v_and_b32_e32 v5, 0x1fffff, v116
                                        ; implicit-def: $vgpr116
	s_delay_alu instid0(VALU_DEP_1) | instskip(SKIP_1) | instid1(VALU_DEP_2)
	v_dual_add_nc_u32 v45, 14, v117 :: v_dual_add_nc_u32 v4, v5, v4
	v_mov_b32_e32 v5, v65
	v_cmpx_ne_u32_e32 0, v45
	s_xor_b32 s8, exec_lo, s8
; %bb.255:                              ;   in Loop: Header=BB0_85 Depth=2
	s_delay_alu instid0(VALU_DEP_2) | instskip(SKIP_2) | instid1(VALU_DEP_2)
	v_cmp_lt_u64_e32 vcc_lo, 0xffffff, v[4:5]
	v_add_nc_u32_e32 v116, 15, v117
	v_cndmask_b32_e64 v117, 0, 1, vcc_lo
	v_cndmask_b32_e32 v116, v45, v116, vcc_lo
	s_delay_alu instid0(VALU_DEP_2)
	v_lshrrev_b64 v[4:5], v117, v[4:5]
; %bb.256:                              ;   in Loop: Header=BB0_85 Depth=2
	s_and_not1_saveexec_b32 s8, s8
; %bb.257:                              ;   in Loop: Header=BB0_85 Depth=2
	s_delay_alu instid0(VALU_DEP_1)
	v_bfe_u32 v116, v4, 23, 1
; %bb.258:                              ;   in Loop: Header=BB0_85 Depth=2
	s_or_b32 exec_lo, exec_lo, s8
	s_delay_alu instid0(VALU_DEP_2) | instskip(NEXT) | instid1(VALU_DEP_2)
	v_lshrrev_b64 v[4:5], 21, v[4:5]
	v_cmp_gt_i32_e32 vcc_lo, 32, v116
	v_min_i32_e32 v117, 31, v116
	v_cmp_eq_u32_e64 s8, 0, v116
	s_delay_alu instid0(VALU_DEP_4) | instskip(NEXT) | instid1(VALU_DEP_3)
	v_cndmask_b32_e32 v5, 0, v5, vcc_lo
	v_dual_cndmask_b32 v4, 3, v4 :: v_dual_lshlrev_b32 v117, 2, v117
	s_delay_alu instid0(VALU_DEP_1) | instskip(NEXT) | instid1(VALU_DEP_2)
	v_and_b32_e32 v117, 0xfc, v117
	v_cmp_eq_u64_e32 vcc_lo, 0, v[4:5]
	s_delay_alu instid0(VALU_DEP_2)
	v_and_or_b32 v4, v4, 3, v117
	s_and_b32 s8, s8, vcc_lo
	s_delay_alu instid0(VALU_DEP_1) | instid1(SALU_CYCLE_1)
	v_cndmask_b32_e64 v4, v4, 0, s8
	s_delay_alu instid0(VALU_DEP_1)
	v_or_b32_e32 v45, v4, v2
.LBB0_259:                              ;   in Loop: Header=BB0_85 Depth=2
	s_or_b32 exec_lo, exec_lo, s22
                                        ; implicit-def: $vgpr2
.LBB0_260:                              ;   in Loop: Header=BB0_85 Depth=2
	s_and_not1_saveexec_b32 s8, s21
; %bb.261:                              ;   in Loop: Header=BB0_85 Depth=2
	v_or_b32_e32 v45, 0x7b, v2
; %bb.262:                              ;   in Loop: Header=BB0_85 Depth=2
	s_or_b32 exec_lo, exec_lo, s8
                                        ; implicit-def: $vgpr116
                                        ; implicit-def: $vgpr4_vgpr5
                                        ; implicit-def: $vgpr2
.LBB0_263:                              ;   in Loop: Header=BB0_85 Depth=2
	s_and_not1_saveexec_b32 s8, s20
	s_cbranch_execz .LBB0_269
; %bb.264:                              ;   in Loop: Header=BB0_85 Depth=2
	s_mov_b32 s20, exec_lo
                                        ; implicit-def: $vgpr45
	v_cmpx_ne_u64_e32 0, v[4:5]
	s_xor_b32 s20, exec_lo, s20
; %bb.265:                              ;   in Loop: Header=BB0_85 Depth=2
	v_or_b32_e32 v45, 0x7f, v2
                                        ; implicit-def: $vgpr116
; %bb.266:                              ;   in Loop: Header=BB0_85 Depth=2
	s_and_not1_saveexec_b32 s20, s20
; %bb.267:                              ;   in Loop: Header=BB0_85 Depth=2
	v_cmp_lt_i32_e32 vcc_lo, -1, v116
	v_cndmask_b32_e32 v45, 0xfc, v59, vcc_lo
; %bb.268:                              ;   in Loop: Header=BB0_85 Depth=2
	s_or_b32 exec_lo, exec_lo, s20
.LBB0_269:                              ;   in Loop: Header=BB0_85 Depth=2
	s_delay_alu instid0(SALU_CYCLE_1) | instskip(SKIP_2) | instid1(VALU_DEP_1)
	s_or_b32 exec_lo, exec_lo, s8
	v_dual_lshrrev_b32 v2, 16, v64 :: v_dual_mov_b32 v4, 0
	s_mov_b32 s8, exec_lo
	v_and_b32_e32 v5, 0xff, v2
	s_delay_alu instid0(VALU_DEP_1)
	v_cmpx_ne_u16_e32 0, v5
	s_cbranch_execz .LBB0_279
; %bb.270:                              ;   in Loop: Header=BB0_85 Depth=2
	v_bfrev_b32_e32 v4, 1
	s_mov_b32 s20, exec_lo
	v_cmpx_ne_u16_e32 0x80, v5
	s_cbranch_execz .LBB0_278
; %bb.271:                              ;   in Loop: Header=BB0_85 Depth=2
	v_and_b32_e32 v4, 0x7c0000, v64
	v_bfe_u32 v5, v64, 16, 2
	s_delay_alu instid0(VALU_DEP_2) | instskip(SKIP_1) | instid1(SALU_CYCLE_1)
	v_cmp_ne_u32_e32 vcc_lo, 0x7c0000, v4
                                        ; implicit-def: $vgpr4
	s_and_saveexec_b32 s21, vcc_lo
	s_xor_b32 s21, exec_lo, s21
	s_cbranch_execz .LBB0_275
; %bb.272:                              ;   in Loop: Header=BB0_85 Depth=2
	v_bfe_u32 v4, v64, 18, 5
	s_mov_b32 s22, exec_lo
	s_delay_alu instid0(VALU_DEP_1)
	v_cmpx_eq_u32_e32 0, v4
; %bb.273:                              ;   in Loop: Header=BB0_85 Depth=2
	v_clz_i32_u32_e32 v4, v5
	s_delay_alu instid0(VALU_DEP_1) | instskip(NEXT) | instid1(VALU_DEP_1)
	v_min_u32_e32 v4, 32, v4
	v_subrev_nc_u32_e32 v5, 29, v4
	v_sub_nc_u32_e32 v4, 30, v4
	s_delay_alu instid0(VALU_DEP_2) | instskip(NEXT) | instid1(VALU_DEP_1)
	v_lshlrev_b64_e32 v[116:117], v5, v[2:3]
	v_and_b32_e32 v5, 3, v116
; %bb.274:                              ;   in Loop: Header=BB0_85 Depth=2
	s_or_b32 exec_lo, exec_lo, s22
	v_lshlrev_b32_e32 v2, 24, v2
	s_delay_alu instid0(VALU_DEP_1) | instskip(NEXT) | instid1(VALU_DEP_1)
	v_and_b32_e32 v2, 0x80000000, v2
	v_lshl_add_u32 v2, v4, 23, v2
	s_delay_alu instid0(VALU_DEP_1) | instskip(NEXT) | instid1(VALU_DEP_1)
	v_lshl_or_b32 v2, v5, 21, v2
                                        ; implicit-def: $vgpr5
	v_add_nc_u32_e32 v4, 0x38000000, v2
                                        ; implicit-def: $vgpr2
.LBB0_275:                              ;   in Loop: Header=BB0_85 Depth=2
	s_and_not1_saveexec_b32 s21, s21
; %bb.276:                              ;   in Loop: Header=BB0_85 Depth=2
	v_bfe_i32 v2, v2, 0, 8
	s_delay_alu instid0(VALU_DEP_1) | instskip(SKIP_2) | instid1(VALU_DEP_2)
	v_cmp_lt_i16_e32 vcc_lo, -1, v2
	v_cndmask_b32_e32 v2, 0xff800000, v21, vcc_lo
	v_cmp_eq_u32_e32 vcc_lo, 0, v5
	v_cndmask_b32_e32 v4, 0x7f800001, v2, vcc_lo
; %bb.277:                              ;   in Loop: Header=BB0_85 Depth=2
	s_or_b32 exec_lo, exec_lo, s21
.LBB0_278:                              ;   in Loop: Header=BB0_85 Depth=2
	s_delay_alu instid0(SALU_CYCLE_1)
	s_or_b32 exec_lo, exec_lo, s20
.LBB0_279:                              ;   in Loop: Header=BB0_85 Depth=2
	s_delay_alu instid0(SALU_CYCLE_1) | instskip(NEXT) | instid1(VALU_DEP_1)
	s_or_b32 exec_lo, exec_lo, s8
	v_dual_mul_f32 v116, v56, v4 :: v_dual_mov_b32 v47, v65
	s_delay_alu instid0(VALU_DEP_1) | instskip(SKIP_2) | instid1(VALU_DEP_2)
	v_dual_mov_b32 v5, v65 :: v_dual_lshrrev_b32 v2, 24, v116
	v_and_b32_e32 v46, 0x7f800000, v116
	v_and_b32_e32 v4, 0x7fffff, v116
	v_cmp_ne_u64_e32 vcc_lo, 0x7f800000, v[46:47]
                                        ; implicit-def: $vgpr46
	s_and_saveexec_b32 s8, vcc_lo
	s_delay_alu instid0(SALU_CYCLE_1)
	s_xor_b32 s20, exec_lo, s8
	s_cbranch_execz .LBB0_293
; %bb.280:                              ;   in Loop: Header=BB0_85 Depth=2
	v_and_b32_e32 v46, 0x7fffffff, v116
	v_mov_b32_e32 v47, v65
	v_and_b32_e32 v2, 0x80, v2
	s_delay_alu instid0(VALU_DEP_2) | instskip(SKIP_1) | instid1(SALU_CYCLE_1)
	v_cmp_gt_u64_e32 vcc_lo, 0x47600001, v[46:47]
                                        ; implicit-def: $vgpr46
	s_and_saveexec_b32 s8, vcc_lo
	s_xor_b32 s21, exec_lo, s8
	s_cbranch_execz .LBB0_290
; %bb.281:                              ;   in Loop: Header=BB0_85 Depth=2
	v_mov_b32_e32 v46, 0
	s_mov_b32 s22, exec_lo
	v_cmpx_ne_u32_e32 0, v116
	s_cbranch_execz .LBB0_289
; %bb.282:                              ;   in Loop: Header=BB0_85 Depth=2
	v_bfe_u32 v46, v116, 23, 8
	v_or_b32_e32 v62, 0x800000, v4
	s_delay_alu instid0(VALU_DEP_2) | instskip(SKIP_2) | instid1(VALU_DEP_2)
	v_sub_nc_u32_e32 v116, 0x71, v46
	v_cmp_gt_u32_e64 s8, 0x72, v46
	v_cmp_eq_u32_e32 vcc_lo, 0, v46
	v_cndmask_b32_e64 v116, 0, v116, s8
	v_cndmask_b32_e32 v4, v62, v4, vcc_lo
	s_delay_alu instid0(VALU_DEP_2) | instskip(NEXT) | instid1(VALU_DEP_1)
	v_cndmask_b32_e64 v47, v116, 0x70, vcc_lo
	v_dual_add_nc_u32 v116, 21, v47 :: v_dual_add_nc_u32 v63, 20, v47
	s_delay_alu instid0(VALU_DEP_1) | instskip(NEXT) | instid1(VALU_DEP_2)
	v_lshlrev_b64_e64 v[116:117], v116, -1
	v_lshlrev_b64_e64 v[62:63], v63, 1
	s_delay_alu instid0(VALU_DEP_2) | instskip(SKIP_1) | instid1(VALU_DEP_4)
	v_bfi_b32 v116, v116, 0, v4
	v_lshrrev_b64 v[4:5], v47, v[4:5]
	v_bfi_b32 v117, v117, 0, 0
	s_delay_alu instid0(VALU_DEP_1) | instskip(NEXT) | instid1(VALU_DEP_3)
	v_cmp_eq_u64_e64 s8, v[116:117], v[62:63]
	v_mov_b64_e32 v[116:117], v[4:5]
	s_and_saveexec_b32 s23, s8
; %bb.283:                              ;   in Loop: Header=BB0_85 Depth=2
	v_bfe_u32 v116, v4, 21, 1
	v_mov_b32_e32 v117, v65
	s_delay_alu instid0(VALU_DEP_1) | instskip(NEXT) | instid1(VALU_DEP_1)
	v_add_nc_u64_e32 v[116:117], v[4:5], v[116:117]
	v_add_nc_u64_e32 v[116:117], -1, v[116:117]
; %bb.284:                              ;   in Loop: Header=BB0_85 Depth=2
	s_or_b32 exec_lo, exec_lo, s23
	v_add_nc_u32_e32 v5, 0xffffff81, v46
	v_lshrrev_b32_e32 v117, 23, v4
	s_mov_b32 s8, exec_lo
	s_delay_alu instid0(VALU_DEP_2) | instskip(NEXT) | instid1(VALU_DEP_1)
	v_cndmask_b32_e64 v5, v5, 0xffffff82, vcc_lo
	v_add3_u32 v117, v47, v5, v117
	v_and_b32_e32 v5, 0x1fffff, v116
                                        ; implicit-def: $vgpr116
	s_delay_alu instid0(VALU_DEP_1) | instskip(SKIP_1) | instid1(VALU_DEP_2)
	v_dual_add_nc_u32 v46, 14, v117 :: v_dual_add_nc_u32 v4, v5, v4
	v_mov_b32_e32 v5, v65
	v_cmpx_ne_u32_e32 0, v46
	s_xor_b32 s8, exec_lo, s8
; %bb.285:                              ;   in Loop: Header=BB0_85 Depth=2
	s_delay_alu instid0(VALU_DEP_2) | instskip(SKIP_2) | instid1(VALU_DEP_2)
	v_cmp_lt_u64_e32 vcc_lo, 0xffffff, v[4:5]
	v_add_nc_u32_e32 v116, 15, v117
	v_cndmask_b32_e64 v117, 0, 1, vcc_lo
	v_cndmask_b32_e32 v116, v46, v116, vcc_lo
	s_delay_alu instid0(VALU_DEP_2)
	v_lshrrev_b64 v[4:5], v117, v[4:5]
; %bb.286:                              ;   in Loop: Header=BB0_85 Depth=2
	s_and_not1_saveexec_b32 s8, s8
; %bb.287:                              ;   in Loop: Header=BB0_85 Depth=2
	s_delay_alu instid0(VALU_DEP_1)
	v_bfe_u32 v116, v4, 23, 1
; %bb.288:                              ;   in Loop: Header=BB0_85 Depth=2
	s_or_b32 exec_lo, exec_lo, s8
	s_delay_alu instid0(VALU_DEP_2) | instskip(NEXT) | instid1(VALU_DEP_2)
	v_lshrrev_b64 v[4:5], 21, v[4:5]
	v_cmp_gt_i32_e32 vcc_lo, 32, v116
	v_min_i32_e32 v117, 31, v116
	v_cmp_eq_u32_e64 s8, 0, v116
	s_delay_alu instid0(VALU_DEP_4) | instskip(NEXT) | instid1(VALU_DEP_3)
	v_cndmask_b32_e32 v5, 0, v5, vcc_lo
	v_dual_cndmask_b32 v4, 3, v4 :: v_dual_lshlrev_b32 v117, 2, v117
	s_delay_alu instid0(VALU_DEP_1) | instskip(NEXT) | instid1(VALU_DEP_2)
	v_and_b32_e32 v117, 0xfc, v117
	v_cmp_eq_u64_e32 vcc_lo, 0, v[4:5]
	s_delay_alu instid0(VALU_DEP_2)
	v_and_or_b32 v4, v4, 3, v117
	s_and_b32 s8, s8, vcc_lo
	s_delay_alu instid0(VALU_DEP_1) | instid1(SALU_CYCLE_1)
	v_cndmask_b32_e64 v4, v4, 0, s8
	s_delay_alu instid0(VALU_DEP_1)
	v_or_b32_e32 v46, v4, v2
.LBB0_289:                              ;   in Loop: Header=BB0_85 Depth=2
	s_or_b32 exec_lo, exec_lo, s22
                                        ; implicit-def: $vgpr2
.LBB0_290:                              ;   in Loop: Header=BB0_85 Depth=2
	s_and_not1_saveexec_b32 s8, s21
; %bb.291:                              ;   in Loop: Header=BB0_85 Depth=2
	v_or_b32_e32 v46, 0x7b, v2
; %bb.292:                              ;   in Loop: Header=BB0_85 Depth=2
	s_or_b32 exec_lo, exec_lo, s8
                                        ; implicit-def: $vgpr116
                                        ; implicit-def: $vgpr4_vgpr5
                                        ; implicit-def: $vgpr2
.LBB0_293:                              ;   in Loop: Header=BB0_85 Depth=2
	s_and_not1_saveexec_b32 s8, s20
	s_cbranch_execz .LBB0_299
; %bb.294:                              ;   in Loop: Header=BB0_85 Depth=2
	s_mov_b32 s20, exec_lo
                                        ; implicit-def: $vgpr46
	v_cmpx_ne_u64_e32 0, v[4:5]
	s_xor_b32 s20, exec_lo, s20
; %bb.295:                              ;   in Loop: Header=BB0_85 Depth=2
	v_or_b32_e32 v46, 0x7f, v2
                                        ; implicit-def: $vgpr116
; %bb.296:                              ;   in Loop: Header=BB0_85 Depth=2
	s_and_not1_saveexec_b32 s20, s20
; %bb.297:                              ;   in Loop: Header=BB0_85 Depth=2
	v_cmp_lt_i32_e32 vcc_lo, -1, v116
	v_cndmask_b32_e32 v46, 0xfc, v59, vcc_lo
; %bb.298:                              ;   in Loop: Header=BB0_85 Depth=2
	s_or_b32 exec_lo, exec_lo, s20
.LBB0_299:                              ;   in Loop: Header=BB0_85 Depth=2
	s_delay_alu instid0(SALU_CYCLE_1)
	s_or_b32 exec_lo, exec_lo, s8
	v_mov_b32_e32 v4, 0
	s_mov_b32 s8, exec_lo
	v_cmpx_lt_u32_e32 0xffffff, v64
	s_cbranch_execz .LBB0_309
; %bb.300:                              ;   in Loop: Header=BB0_85 Depth=2
	v_lshrrev_b32_e32 v2, 24, v64
	v_bfrev_b32_e32 v4, 1
	s_mov_b32 s20, exec_lo
	s_delay_alu instid0(VALU_DEP_2)
	v_cmpx_ne_u32_e32 0x80, v2
	s_cbranch_execz .LBB0_308
; %bb.301:                              ;   in Loop: Header=BB0_85 Depth=2
	v_and_b32_e32 v4, 0x7c000000, v64
	v_bfe_u32 v5, v64, 24, 2
	s_delay_alu instid0(VALU_DEP_2) | instskip(SKIP_1) | instid1(SALU_CYCLE_1)
	v_cmp_ne_u32_e32 vcc_lo, 0x7c000000, v4
                                        ; implicit-def: $vgpr4
	s_and_saveexec_b32 s21, vcc_lo
	s_xor_b32 s21, exec_lo, s21
	s_cbranch_execz .LBB0_305
; %bb.302:                              ;   in Loop: Header=BB0_85 Depth=2
	v_bfe_u32 v4, v64, 26, 5
	s_mov_b32 s22, exec_lo
	s_delay_alu instid0(VALU_DEP_1)
	v_cmpx_eq_u32_e32 0, v4
; %bb.303:                              ;   in Loop: Header=BB0_85 Depth=2
	v_clz_i32_u32_e32 v4, v5
	s_delay_alu instid0(VALU_DEP_1) | instskip(NEXT) | instid1(VALU_DEP_1)
	v_min_u32_e32 v4, 32, v4
	v_subrev_nc_u32_e32 v5, 29, v4
	v_sub_nc_u32_e32 v4, 30, v4
	s_delay_alu instid0(VALU_DEP_2) | instskip(NEXT) | instid1(VALU_DEP_1)
	v_lshlrev_b64_e32 v[116:117], v5, v[2:3]
	v_and_b32_e32 v5, 3, v116
; %bb.304:                              ;   in Loop: Header=BB0_85 Depth=2
	s_or_b32 exec_lo, exec_lo, s22
	v_and_b32_e32 v2, 0x80000000, v64
	s_delay_alu instid0(VALU_DEP_1) | instskip(NEXT) | instid1(VALU_DEP_1)
	v_lshl_add_u32 v2, v4, 23, v2
	v_lshl_or_b32 v2, v5, 21, v2
                                        ; implicit-def: $vgpr5
	s_delay_alu instid0(VALU_DEP_1)
	v_add_nc_u32_e32 v4, 0x38000000, v2
.LBB0_305:                              ;   in Loop: Header=BB0_85 Depth=2
	s_and_not1_saveexec_b32 s21, s21
; %bb.306:                              ;   in Loop: Header=BB0_85 Depth=2
	v_cmp_lt_i32_e32 vcc_lo, -1, v64
	v_cndmask_b32_e32 v2, 0xff800000, v21, vcc_lo
	v_cmp_eq_u32_e32 vcc_lo, 0, v5
	s_delay_alu instid0(VALU_DEP_2)
	v_cndmask_b32_e32 v4, 0x7f800001, v2, vcc_lo
; %bb.307:                              ;   in Loop: Header=BB0_85 Depth=2
	s_or_b32 exec_lo, exec_lo, s21
.LBB0_308:                              ;   in Loop: Header=BB0_85 Depth=2
	s_delay_alu instid0(SALU_CYCLE_1)
	s_or_b32 exec_lo, exec_lo, s20
.LBB0_309:                              ;   in Loop: Header=BB0_85 Depth=2
	s_delay_alu instid0(SALU_CYCLE_1) | instskip(NEXT) | instid1(VALU_DEP_1)
	s_or_b32 exec_lo, exec_lo, s8
	v_dual_mul_f32 v5, v56, v4 :: v_dual_mov_b32 v117, v65
                                        ; implicit-def: $vgpr4
	s_mov_b32 s8, exec_lo
	s_delay_alu instid0(VALU_DEP_1) | instskip(SKIP_2) | instid1(VALU_DEP_3)
	v_and_b32_e32 v116, 0x7f800000, v5
	v_and_b32_e32 v64, 0x7fffff, v5
	v_lshrrev_b32_e32 v2, 24, v5
	v_cmpx_ne_u64_e32 0x7f800000, v[116:117]
	s_xor_b32 s20, exec_lo, s8
	s_cbranch_execz .LBB0_323
; %bb.310:                              ;   in Loop: Header=BB0_85 Depth=2
	v_and_b32_e32 v116, 0x7fffffff, v5
	v_mov_b32_e32 v117, v65
	v_and_b32_e32 v2, 0x80, v2
                                        ; implicit-def: $vgpr4
	s_mov_b32 s8, exec_lo
	s_delay_alu instid0(VALU_DEP_2)
	v_cmpx_gt_u64_e32 0x47600001, v[116:117]
	s_xor_b32 s21, exec_lo, s8
	s_cbranch_execz .LBB0_320
; %bb.311:                              ;   in Loop: Header=BB0_85 Depth=2
	v_mov_b32_e32 v4, 0
	s_mov_b32 s22, exec_lo
	v_cmpx_ne_u32_e32 0, v5
	s_cbranch_execz .LBB0_319
; %bb.312:                              ;   in Loop: Header=BB0_85 Depth=2
	v_bfe_u32 v47, v5, 23, 8
	v_or_b32_e32 v116, 0x800000, v64
	s_delay_alu instid0(VALU_DEP_2) | instskip(SKIP_1) | instid1(VALU_DEP_2)
	v_sub_nc_u32_e32 v4, 0x71, v47
	v_cmp_gt_u32_e32 vcc_lo, 0x72, v47
	v_cndmask_b32_e32 v4, 0, v4, vcc_lo
	v_cmp_eq_u32_e32 vcc_lo, 0, v47
	s_delay_alu instid0(VALU_DEP_2) | instskip(NEXT) | instid1(VALU_DEP_1)
	v_cndmask_b32_e64 v62, v4, 0x70, vcc_lo
	v_dual_cndmask_b32 v64, v116, v64, vcc_lo :: v_dual_add_nc_u32 v4, 21, v62
	v_add_nc_u32_e32 v117, 20, v62
	s_delay_alu instid0(VALU_DEP_2) | instskip(NEXT) | instid1(VALU_DEP_2)
	v_lshlrev_b64_e64 v[4:5], v4, -1
	v_lshlrev_b64_e64 v[116:117], v117, 1
	s_delay_alu instid0(VALU_DEP_2) | instskip(NEXT) | instid1(VALU_DEP_3)
	v_bfi_b32 v73, v5, 0, 0
	v_bfi_b32 v72, v4, 0, v64
	v_lshrrev_b64 v[4:5], v62, v[64:65]
	s_delay_alu instid0(VALU_DEP_2) | instskip(NEXT) | instid1(VALU_DEP_2)
	v_cmp_eq_u64_e64 s8, v[72:73], v[116:117]
	v_mov_b64_e32 v[116:117], v[4:5]
	s_and_saveexec_b32 s23, s8
; %bb.313:                              ;   in Loop: Header=BB0_85 Depth=2
	v_bfe_u32 v64, v4, 21, 1
	s_delay_alu instid0(VALU_DEP_1) | instskip(NEXT) | instid1(VALU_DEP_1)
	v_add_nc_u64_e32 v[116:117], v[4:5], v[64:65]
	v_add_nc_u64_e32 v[116:117], -1, v[116:117]
; %bb.314:                              ;   in Loop: Header=BB0_85 Depth=2
	s_or_b32 exec_lo, exec_lo, s23
	v_add_nc_u32_e32 v5, 0xffffff81, v47
	v_lshrrev_b32_e32 v64, 23, v4
	s_mov_b32 s8, exec_lo
	s_delay_alu instid0(VALU_DEP_2) | instskip(NEXT) | instid1(VALU_DEP_1)
	v_cndmask_b32_e64 v5, v5, 0xffffff82, vcc_lo
	v_add3_u32 v117, v62, v5, v64
	v_and_b32_e32 v5, 0x1fffff, v116
                                        ; implicit-def: $vgpr116
	s_delay_alu instid0(VALU_DEP_1) | instskip(NEXT) | instid1(VALU_DEP_1)
	v_dual_add_nc_u32 v47, 14, v117 :: v_dual_add_nc_u32 v64, v5, v4
                                        ; implicit-def: $vgpr4_vgpr5
	v_cmpx_ne_u32_e32 0, v47
	s_xor_b32 s8, exec_lo, s8
; %bb.315:                              ;   in Loop: Header=BB0_85 Depth=2
	s_delay_alu instid0(VALU_DEP_2) | instskip(SKIP_1) | instid1(VALU_DEP_1)
	v_cmp_lt_u64_e32 vcc_lo, 0xffffff, v[64:65]
	v_add_nc_u32_e32 v4, 15, v117
	v_cndmask_b32_e32 v116, v47, v4, vcc_lo
	v_cndmask_b32_e64 v4, 0, 1, vcc_lo
	s_delay_alu instid0(VALU_DEP_1)
	v_lshrrev_b64 v[4:5], v4, v[64:65]
; %bb.316:                              ;   in Loop: Header=BB0_85 Depth=2
	s_and_not1_saveexec_b32 s8, s8
; %bb.317:                              ;   in Loop: Header=BB0_85 Depth=2
	v_mov_b64_e32 v[4:5], v[64:65]
	v_bfe_u32 v116, v64, 23, 1
; %bb.318:                              ;   in Loop: Header=BB0_85 Depth=2
	s_or_b32 exec_lo, exec_lo, s8
	s_delay_alu instid0(VALU_DEP_2) | instskip(NEXT) | instid1(VALU_DEP_2)
	v_lshrrev_b64 v[4:5], 21, v[4:5]
	v_cmp_gt_i32_e32 vcc_lo, 32, v116
	v_min_i32_e32 v64, 31, v116
	v_cmp_eq_u32_e64 s8, 0, v116
	s_delay_alu instid0(VALU_DEP_2) | instskip(SKIP_1) | instid1(VALU_DEP_2)
	v_dual_cndmask_b32 v5, 0, v5 :: v_dual_lshlrev_b32 v64, 2, v64
	v_cndmask_b32_e32 v4, 3, v4, vcc_lo
	v_and_b32_e32 v64, 0xfc, v64
	s_delay_alu instid0(VALU_DEP_2) | instskip(NEXT) | instid1(VALU_DEP_2)
	v_cmp_eq_u64_e32 vcc_lo, 0, v[4:5]
	v_and_or_b32 v4, v4, 3, v64
	s_and_b32 s8, s8, vcc_lo
	s_delay_alu instid0(VALU_DEP_1) | instid1(SALU_CYCLE_1)
	v_cndmask_b32_e64 v4, v4, 0, s8
	s_delay_alu instid0(VALU_DEP_1)
	v_or_b32_e32 v4, v4, v2
.LBB0_319:                              ;   in Loop: Header=BB0_85 Depth=2
	s_or_b32 exec_lo, exec_lo, s22
                                        ; implicit-def: $vgpr2
.LBB0_320:                              ;   in Loop: Header=BB0_85 Depth=2
	s_and_not1_saveexec_b32 s8, s21
; %bb.321:                              ;   in Loop: Header=BB0_85 Depth=2
	v_or_b32_e32 v4, 0x7b, v2
; %bb.322:                              ;   in Loop: Header=BB0_85 Depth=2
	s_or_b32 exec_lo, exec_lo, s8
                                        ; implicit-def: $vgpr5
                                        ; implicit-def: $vgpr2
.LBB0_323:                              ;   in Loop: Header=BB0_85 Depth=2
	s_and_not1_saveexec_b32 s8, s20
	s_cbranch_execz .LBB0_84
; %bb.324:                              ;   in Loop: Header=BB0_85 Depth=2
	s_mov_b32 s20, exec_lo
                                        ; implicit-def: $vgpr4
	v_cmpx_ne_u64_e32 0, v[64:65]
	s_xor_b32 s20, exec_lo, s20
; %bb.325:                              ;   in Loop: Header=BB0_85 Depth=2
	v_or_b32_e32 v4, 0x7f, v2
                                        ; implicit-def: $vgpr5
; %bb.326:                              ;   in Loop: Header=BB0_85 Depth=2
	s_and_not1_saveexec_b32 s20, s20
	s_cbranch_execz .LBB0_83
; %bb.327:                              ;   in Loop: Header=BB0_85 Depth=2
	v_cmp_lt_i32_e32 vcc_lo, -1, v5
	v_cndmask_b32_e32 v4, 0xfc, v59, vcc_lo
	s_branch .LBB0_83
.LBB0_328:                              ;   in Loop: Header=BB0_46 Depth=1
	s_or_b32 exec_lo, exec_lo, s19
.LBB0_329:                              ;   in Loop: Header=BB0_46 Depth=1
	s_delay_alu instid0(SALU_CYCLE_1) | instskip(SKIP_2) | instid1(VALU_DEP_2)
	s_or_b32 exec_lo, exec_lo, s18
	v_and_b32_e32 v64, 0x7ffffff8, v16
	v_cmp_gt_i32_e64 s8, s15, v18
	v_cmp_eq_u64_e32 vcc_lo, 0x7ffffff8, v[64:65]
	s_and_b32 s18, vcc_lo, s8
	s_delay_alu instid0(SALU_CYCLE_1)
	s_and_saveexec_b32 s8, s18
	s_cbranch_execz .LBB0_332
; %bb.330:                              ;   in Loop: Header=BB0_46 Depth=1
	v_mul_lo_u32 v4, v19, s15
	v_mov_b32_e32 v2, v65
	s_mov_b32 s18, 0
	s_delay_alu instid0(VALU_DEP_2) | instskip(NEXT) | instid1(VALU_DEP_1)
	v_dual_ashrrev_i32 v19, 31, v18 :: v_dual_ashrrev_i32 v5, 31, v4
	v_lshlrev_b64_e32 v[4:5], 4, v[4:5]
	s_delay_alu instid0(VALU_DEP_1) | instskip(NEXT) | instid1(VALU_DEP_1)
	v_lshl_add_u64 v[4:5], v[18:19], 4, v[4:5]
	v_add_nc_u64_e32 v[112:113], v[36:37], v[4:5]
.LBB0_331:                              ;   Parent Loop BB0_46 Depth=1
                                        ; =>  This Inner Loop Header: Depth=2
	v_dual_mov_b32 v4, v2 :: v_dual_mov_b32 v5, v3
	v_add_nc_u32_e32 v18, v18, v20
	global_store_b128 v[112:113], v[2:5], off
	v_cmp_le_i32_e32 vcc_lo, s15, v18
	s_wait_xcnt 0x0
	v_add_nc_u64_e32 v[112:113], v[112:113], v[102:103]
	s_or_b32 s18, vcc_lo, s18
	s_delay_alu instid0(SALU_CYCLE_1)
	s_and_not1_b32 exec_lo, exec_lo, s18
	s_cbranch_execnz .LBB0_331
.LBB0_332:                              ;   in Loop: Header=BB0_46 Depth=1
	s_or_b32 exec_lo, exec_lo, s8
	v_add_nc_u64_e32 v[112:113], v[80:81], v[24:25]
	s_wait_loadcnt_dscnt 0x0
	v_add_nc_u64_e32 v[114:115], 1, v[16:17]
	s_and_not1_b32 vcc_lo, exec_lo, s17
	s_cbranch_vccnz .LBB0_974
; %bb.333:                              ;   in Loop: Header=BB0_46 Depth=1
	s_delay_alu instid0(VALU_DEP_2)
	v_add_nc_u64_e32 v[116:117], v[96:97], v[112:113]
	v_add_nc_u16 v62, v16, 1
	s_mov_b32 s18, 2
	s_branch .LBB0_335
.LBB0_334:                              ;   in Loop: Header=BB0_335 Depth=2
	s_or_b32 exec_lo, exec_lo, s8
	v_add_nc_u64_e32 v[34:35], 1, v[34:35]
	v_add_nc_u64_e32 v[114:115], 1, v[114:115]
	v_add_nc_u16 v62, v62, 1
	s_add_co_i32 s18, s18, 1
	s_delay_alu instid0(SALU_CYCLE_1)
	s_cmp_eq_u32 s18, s10
	s_cbranch_scc1 .LBB0_974
.LBB0_335:                              ;   Parent Loop BB0_46 Depth=1
                                        ; =>  This Loop Header: Depth=2
                                        ;       Child Loop BB0_340 Depth 3
                                        ;       Child Loop BB0_359 Depth 3
	;; [unrolled: 1-line block ×3, first 2 shown]
                                        ;         Child Loop BB0_388 Depth 4
                                        ;       Child Loop BB0_963 Depth 3
                                        ;       Child Loop BB0_376 Depth 3
	s_sub_co_i32 s8, s10, s18
	v_readfirstlane_b32 s20, v22
	v_mov_b32_e32 v2, s8
	v_readfirstlane_b32 s21, v23
	flat_load_b32 v4, v2, s[20:21] scale_offset
	s_wait_xcnt 0x0
	s_and_saveexec_b32 s19, s1
	s_cbranch_execz .LBB0_351
; %bb.336:                              ;   in Loop: Header=BB0_335 Depth=2
	v_add_nc_u64_e32 v[2:3], 1, v[14:15]
	v_add_nc_u64_e32 v[16:17], 8, v[54:55]
	s_mov_b32 s20, exec_lo
	s_delay_alu instid0(VALU_DEP_1)
	v_cmpx_lt_u64_e64 v[16:17], v[2:3]
	s_cbranch_execz .LBB0_348
; %bb.337:                              ;   in Loop: Header=BB0_335 Depth=2
	s_mov_b32 s21, 0
	s_mov_b32 s25, 0
	v_cmp_eq_u32_e32 vcc_lo, 0, v60
                                        ; implicit-def: $sgpr22
                                        ; implicit-def: $sgpr23
                                        ; implicit-def: $sgpr24
	s_branch .LBB0_340
.LBB0_338:                              ;   in Loop: Header=BB0_340 Depth=3
	s_or_b32 exec_lo, exec_lo, s40
	s_delay_alu instid0(SALU_CYCLE_1)
	s_and_not1_b32 s8, s24, exec_lo
	s_and_b32 s24, s28, exec_lo
	s_and_not1_b32 s23, s23, exec_lo
	s_and_b32 s27, s27, exec_lo
	s_or_b32 s24, s8, s24
	s_or_b32 s23, s23, s27
.LBB0_339:                              ;   in Loop: Header=BB0_340 Depth=3
	s_or_b32 exec_lo, exec_lo, s26
	s_delay_alu instid0(SALU_CYCLE_1) | instskip(NEXT) | instid1(SALU_CYCLE_1)
	s_and_b32 s8, exec_lo, s23
	s_or_b32 s21, s8, s21
	s_and_not1_b32 s8, s22, exec_lo
	s_and_b32 s22, s24, exec_lo
	s_delay_alu instid0(SALU_CYCLE_1)
	s_or_b32 s22, s8, s22
	s_and_not1_b32 exec_lo, exec_lo, s21
	s_cbranch_execz .LBB0_345
.LBB0_340:                              ;   Parent Loop BB0_46 Depth=1
                                        ;     Parent Loop BB0_335 Depth=2
                                        ; =>    This Inner Loop Header: Depth=3
	s_sleep 1
	s_wait_loadcnt_dscnt 0x0
	flat_load_b64 v[54:55], v[50:51] scope:SCOPE_DEV
	v_mov_b32_e32 v60, 1
	s_or_b32 s24, s24, exec_lo
	s_or_b32 s23, s23, exec_lo
                                        ; implicit-def: $vgpr5
	s_wait_xcnt 0x0
	s_and_saveexec_b32 s26, vcc_lo
	s_cbranch_execz .LBB0_339
; %bb.341:                              ;   in Loop: Header=BB0_340 Depth=3
	s_add_co_i32 s25, s25, 1
	s_mov_b32 s27, -1
	s_cmp_lg_u32 s25, 0x2710
	s_mov_b32 s28, -1
	s_cselect_b32 s29, -1, 0
	s_cmp_eq_u32 s25, 0x2710
                                        ; implicit-def: $vgpr5
	s_cbranch_scc1 .LBB0_343
; %bb.342:                              ;   in Loop: Header=BB0_340 Depth=3
	v_mov_b32_e32 v60, 1
	s_and_saveexec_b32 s40, s29
	s_cbranch_execz .LBB0_338
	s_branch .LBB0_344
.LBB0_343:                              ;   in Loop: Header=BB0_340 Depth=3
	s_trap 2
	ds_load_b64 v[16:17], v0
	s_and_not1_b32 s25, s29, exec_lo
	s_mov_b32 s28, 0
	s_wait_storecnt 0x0
	s_wait_loadcnt_dscnt 0x0
	flat_load_b32 v5, v[16:17] scope:SCOPE_SYS
	s_wait_loadcnt_dscnt 0x0
	global_inv scope:SCOPE_SYS
	v_cmp_eq_u32_e64 s8, 0, v5
	s_and_b32 s8, s8, exec_lo
	s_delay_alu instid0(SALU_CYCLE_1)
	s_or_b32 s29, s25, s8
	s_mov_b32 s25, 0
	v_mov_b32_e32 v60, 1
	s_and_saveexec_b32 s40, s29
	s_cbranch_execz .LBB0_338
.LBB0_344:                              ;   in Loop: Header=BB0_340 Depth=3
	s_wait_loadcnt_dscnt 0x0
	v_add_nc_u64_e32 v[16:17], 8, v[54:55]
	v_mov_b32_e32 v60, 0
	s_or_b32 s28, s28, exec_lo
	s_delay_alu instid0(VALU_DEP_2)
	v_cmp_ge_u64_e64 s8, v[16:17], v[2:3]
	s_or_not1_b32 s27, s8, exec_lo
	s_branch .LBB0_338
.LBB0_345:                              ;   in Loop: Header=BB0_335 Depth=2
	s_or_b32 exec_lo, exec_lo, s21
	s_xor_b32 s8, s22, -1
	s_delay_alu instid0(SALU_CYCLE_1) | instskip(NEXT) | instid1(SALU_CYCLE_1)
	s_and_saveexec_b32 s21, s8
	s_xor_b32 s8, exec_lo, s21
	s_cbranch_execz .LBB0_347
; %bb.346:                              ;   in Loop: Header=BB0_335 Depth=2
	v_mov_b32_e32 v60, 1
	s_wait_storecnt 0x0
	s_wait_loadcnt_dscnt 0x0
	ds_store_b32 v0, v5
	s_trap 2
.LBB0_347:                              ;   in Loop: Header=BB0_335 Depth=2
	s_or_b32 exec_lo, exec_lo, s8
.LBB0_348:                              ;   in Loop: Header=BB0_335 Depth=2
	s_delay_alu instid0(SALU_CYCLE_1)
	s_or_b32 exec_lo, exec_lo, s20
	s_and_saveexec_b32 s8, s2
	s_cbranch_execz .LBB0_350
; %bb.349:                              ;   in Loop: Header=BB0_335 Depth=2
	v_and_b32_e32 v64, 0x7ffffff8, v14
	s_delay_alu instid0(VALU_DEP_1) | instskip(SKIP_1) | instid1(VALU_DEP_1)
	v_cmp_eq_u64_e32 vcc_lo, 0x7ffffff8, v[64:65]
	v_cndmask_b32_e64 v16, v30, s11, vcc_lo
	v_dual_ashrrev_i32 v17, 31, v16 :: v_dual_bitop2_b32 v5, 7, v14 bitop3:0x40
	s_delay_alu instid0(VALU_DEP_1)
	v_mad_nc_u64_u32 v[14:15], v5, 24, v[12:13]
	flat_store_b64 v[14:15], v[16:17] offset:8 scope:SCOPE_SYS
	s_wait_storecnt 0x0
.LBB0_350:                              ;   in Loop: Header=BB0_335 Depth=2
	s_wait_xcnt 0x0
	s_or_b32 exec_lo, exec_lo, s8
	v_mov_b64_e32 v[14:15], v[2:3]
.LBB0_351:                              ;   in Loop: Header=BB0_335 Depth=2
	s_or_b32 exec_lo, exec_lo, s19
	s_and_saveexec_b32 s8, s3
	s_cbranch_execz .LBB0_370
; %bb.352:                              ;   in Loop: Header=BB0_335 Depth=2
	s_and_saveexec_b32 s19, s4
	s_delay_alu instid0(SALU_CYCLE_1)
	s_xor_b32 s19, exec_lo, s19
	s_cbranch_execz .LBB0_367
; %bb.353:                              ;   in Loop: Header=BB0_335 Depth=2
	s_and_saveexec_b32 s20, s5
	s_cbranch_execz .LBB0_366
; %bb.354:                              ;   in Loop: Header=BB0_335 Depth=2
	s_mov_b32 s22, exec_lo
	s_mov_b32 s21, exec_lo
	v_mbcnt_lo_u32_b32 v2, s22, 0
	global_wb scope:SCOPE_DEV
	s_wait_storecnt 0x0
	s_wait_loadcnt_dscnt 0x0
	global_inv scope:SCOPE_DEV
	v_cmpx_eq_u32_e32 0, v2
	s_cbranch_execz .LBB0_356
; %bb.355:                              ;   in Loop: Header=BB0_335 Depth=2
	s_bcnt1_i32_b32 s22, s22
	s_delay_alu instid0(SALU_CYCLE_1)
	v_mov_b32_e32 v64, s22
	s_wait_loadcnt 0x0
	ds_add_u64 v0, v[64:65]
	s_trap 2
.LBB0_356:                              ;   in Loop: Header=BB0_335 Depth=2
	s_or_b32 exec_lo, exec_lo, s21
	s_trap 2
	ds_load_b64 v[2:3], v0
	s_wait_dscnt 0x0
	v_add_nc_u64_e32 v[52:53], v[52:53], v[82:83]
	s_mov_b32 s21, exec_lo
	s_delay_alu instid0(VALU_DEP_1)
	v_cmpx_lt_u64_e64 v[2:3], v[52:53]
	s_cbranch_execz .LBB0_365
; %bb.357:                              ;   in Loop: Header=BB0_335 Depth=2
	s_mov_b32 s22, 0
	s_mov_b32 s25, 0
                                        ; implicit-def: $sgpr23
                                        ; implicit-def: $sgpr24
	s_branch .LBB0_359
.LBB0_358:                              ;   in Loop: Header=BB0_359 Depth=3
	s_or_b32 exec_lo, exec_lo, s27
	s_delay_alu instid0(SALU_CYCLE_1) | instskip(NEXT) | instid1(SALU_CYCLE_1)
	s_and_b32 s26, exec_lo, s28
	s_or_b32 s22, s26, s22
	s_and_not1_b32 s23, s23, exec_lo
	s_and_b32 s26, s24, exec_lo
	s_delay_alu instid0(SALU_CYCLE_1)
	s_or_b32 s23, s23, s26
	s_and_not1_b32 exec_lo, exec_lo, s22
	s_cbranch_execz .LBB0_363
.LBB0_359:                              ;   Parent Loop BB0_46 Depth=1
                                        ;     Parent Loop BB0_335 Depth=2
                                        ; =>    This Inner Loop Header: Depth=3
	s_add_co_i32 s25, s25, 1
	s_delay_alu instid0(SALU_CYCLE_1) | instskip(SKIP_1) | instid1(SALU_CYCLE_1)
	s_cmp_lg_u32 s25, 0x2710
	s_cselect_b32 s26, -1, 0
	s_and_b32 vcc_lo, exec_lo, s26
	s_cbranch_vccz .LBB0_361
; %bb.360:                              ;   in Loop: Header=BB0_359 Depth=3
	s_mov_b32 s28, -1
	s_or_b32 s24, s24, exec_lo
	s_and_saveexec_b32 s27, s26
	s_cbranch_execz .LBB0_358
	s_branch .LBB0_362
.LBB0_361:                              ;   in Loop: Header=BB0_359 Depth=3
	s_trap 2
	ds_load_b64 v[2:3], v0
	s_and_not1_b32 s26, s26, exec_lo
	s_mov_b32 s25, 0
	s_wait_loadcnt_dscnt 0x0
	flat_load_b32 v2, v[2:3] scope:SCOPE_SYS
	s_wait_loadcnt_dscnt 0x0
	global_inv scope:SCOPE_SYS
	v_cmp_eq_u32_e32 vcc_lo, 0, v2
	s_and_b32 s27, vcc_lo, exec_lo
	s_delay_alu instid0(SALU_CYCLE_1)
	s_or_b32 s26, s26, s27
	s_mov_b32 s28, -1
	s_or_b32 s24, s24, exec_lo
	s_and_saveexec_b32 s27, s26
	s_cbranch_execz .LBB0_358
.LBB0_362:                              ;   in Loop: Header=BB0_359 Depth=3
	s_sleep 1
	s_trap 2
	ds_load_b64 v[2:3], v0
	s_wait_dscnt 0x0
	s_and_not1_b32 s24, s24, exec_lo
	v_cmp_ge_u64_e32 vcc_lo, v[2:3], v[52:53]
	s_or_not1_b32 s28, vcc_lo, exec_lo
	s_branch .LBB0_358
.LBB0_363:                              ;   in Loop: Header=BB0_335 Depth=2
	s_or_b32 exec_lo, exec_lo, s22
	s_and_saveexec_b32 s22, s23
	s_delay_alu instid0(SALU_CYCLE_1)
	s_xor_b32 s22, exec_lo, s22
	s_cbranch_execz .LBB0_365
; %bb.364:                              ;   in Loop: Header=BB0_335 Depth=2
	ds_store_b32 v0, v1
	s_trap 2
.LBB0_365:                              ;   in Loop: Header=BB0_335 Depth=2
	s_or_b32 exec_lo, exec_lo, s21
	;;#ASMSTART
	s_wakeup
	;;#ASMEND
.LBB0_366:                              ;   in Loop: Header=BB0_335 Depth=2
	s_or_b32 exec_lo, exec_lo, s20
.LBB0_367:                              ;   in Loop: Header=BB0_335 Depth=2
	s_and_not1_saveexec_b32 s19, s19
	s_cbranch_execz .LBB0_369
; %bb.368:                              ;   in Loop: Header=BB0_335 Depth=2
	global_wb scope:SCOPE_DEV
	s_wait_storecnt 0x0
	s_wait_loadcnt_dscnt 0x0
	global_inv scope:SCOPE_DEV
	s_barrier_signal -1
	s_barrier_wait -1
.LBB0_369:                              ;   in Loop: Header=BB0_335 Depth=2
	s_or_b32 exec_lo, exec_lo, s19
.LBB0_370:                              ;   in Loop: Header=BB0_335 Depth=2
	s_delay_alu instid0(SALU_CYCLE_1)
	s_or_b32 exec_lo, exec_lo, s8
	v_dual_mov_b32 v64, v0 :: v_dual_add_nc_u32 v3, 1, v114
	s_and_saveexec_b32 s19, s7
	s_cbranch_execnz .LBB0_377
; %bb.371:                              ;   in Loop: Header=BB0_335 Depth=2
	s_or_b32 exec_lo, exec_lo, s19
	s_and_saveexec_b32 s8, s3
	s_cbranch_execnz .LBB0_956
.LBB0_372:                              ;   in Loop: Header=BB0_335 Depth=2
	s_or_b32 exec_lo, exec_lo, s8
	s_and_saveexec_b32 s8, s6
	s_cbranch_execz .LBB0_374
.LBB0_373:                              ;   in Loop: Header=BB0_335 Depth=2
	v_add_nc_u64_e32 v[38:39], 1, v[38:39]
	global_wb scope:SCOPE_SYS
	s_wait_storecnt 0x0
	s_wait_loadcnt_dscnt 0x0
	flat_store_b64 v[48:49], v[38:39] scope:SCOPE_SYS
.LBB0_374:                              ;   in Loop: Header=BB0_335 Depth=2
	s_wait_xcnt 0x0
	s_or_b32 exec_lo, exec_lo, s8
	s_wait_loadcnt_dscnt 0x0
	v_and_b32_e32 v4, 0x7ffffff8, v114
	v_mov_b32_e32 v5, v65
	v_cmp_gt_i32_e64 s8, s15, v64
	s_delay_alu instid0(VALU_DEP_2) | instskip(SKIP_1) | instid1(SALU_CYCLE_1)
	v_cmp_eq_u64_e32 vcc_lo, 0x7ffffff8, v[4:5]
	s_and_b32 s19, vcc_lo, s8
	s_and_saveexec_b32 s8, s19
	s_cbranch_execz .LBB0_334
; %bb.375:                              ;   in Loop: Header=BB0_335 Depth=2
	v_dual_ashrrev_i32 v17, 31, v64 :: v_dual_bitop2_b32 v2, 7, v62 bitop3:0x40
	v_mov_b32_e32 v16, v64
	s_mov_b32 s19, 0
	s_delay_alu instid0(VALU_DEP_2) | instskip(NEXT) | instid1(VALU_DEP_1)
	v_mul_lo_u32 v4, s15, v2
	v_dual_mov_b32 v2, v65 :: v_dual_ashrrev_i32 v5, 31, v4
	s_delay_alu instid0(VALU_DEP_1) | instskip(NEXT) | instid1(VALU_DEP_1)
	v_lshlrev_b64_e32 v[4:5], 4, v[4:5]
	v_lshl_add_u64 v[4:5], v[16:17], 4, v[4:5]
	s_delay_alu instid0(VALU_DEP_1)
	v_add_nc_u64_e32 v[16:17], v[36:37], v[4:5]
.LBB0_376:                              ;   Parent Loop BB0_46 Depth=1
                                        ;     Parent Loop BB0_335 Depth=2
                                        ; =>    This Inner Loop Header: Depth=3
	s_delay_alu instid0(VALU_DEP_4) | instskip(SKIP_1) | instid1(VALU_DEP_2)
	v_dual_mov_b32 v4, v2 :: v_dual_add_nc_u32 v64, v64, v20
	v_mov_b32_e32 v5, v3
	v_cmp_le_i32_e32 vcc_lo, s15, v64
	global_store_b128 v[16:17], v[2:5], off
	s_wait_xcnt 0x0
	v_add_nc_u64_e32 v[16:17], v[16:17], v[102:103]
	s_or_b32 s19, vcc_lo, s19
	s_delay_alu instid0(SALU_CYCLE_1)
	s_and_not1_b32 exec_lo, exec_lo, s19
	s_cbranch_execnz .LBB0_376
	s_branch .LBB0_334
.LBB0_377:                              ;   in Loop: Header=BB0_335 Depth=2
	v_and_b32_e32 v2, 7, v34
	s_wait_loadcnt_dscnt 0x0
	v_mad_nc_u64_u32 v[118:119], v68, v4, v[116:117]
	v_dual_mov_b32 v64, v0 :: v_dual_add_nc_u32 v63, 1, v34
	s_mov_b32 s20, 0
	v_mul_lo_u32 v16, v2, s15
	v_dual_mov_b32 v72, v61 :: v_dual_bitop2_b32 v5, 7, v114 bitop3:0x40
	s_delay_alu instid0(VALU_DEP_4) | instskip(SKIP_1) | instid1(VALU_DEP_4)
	v_mad_u32 v2, v69, v4, v119
	v_ashrrev_i32_e32 v4, 31, v4
	v_ashrrev_i32_e32 v17, 31, v16
	s_delay_alu instid0(VALU_DEP_4) | instskip(NEXT) | instid1(VALU_DEP_2)
	v_mul_lo_u32 v18, v5, s15
	v_lshl_add_u64 v[40:41], v[16:17], 4, v[32:33]
	s_delay_alu instid0(VALU_DEP_4) | instskip(NEXT) | instid1(VALU_DEP_3)
	v_mad_u32 v119, v68, v4, v2
	v_ashrrev_i32_e32 v19, 31, v18
	s_delay_alu instid0(VALU_DEP_1)
	v_lshl_add_u64 v[42:43], v[18:19], 4, v[36:37]
	s_branch .LBB0_380
.LBB0_378:                              ;   in Loop: Header=BB0_380 Depth=3
	s_or_b32 exec_lo, exec_lo, s21
.LBB0_379:                              ;   in Loop: Header=BB0_380 Depth=3
	s_delay_alu instid0(SALU_CYCLE_1) | instskip(SKIP_3) | instid1(VALU_DEP_3)
	s_or_b32 exec_lo, exec_lo, s8
	v_dual_lshlrev_b32 v2, 8, v75 :: v_dual_lshlrev_b32 v4, 16, v46
	v_dual_lshlrev_b32 v5, 8, v74 :: v_dual_lshlrev_b32 v17, 16, v44
	v_dual_lshlrev_b32 v18, 24, v47 :: v_dual_sub_nc_u32 v72, v72, v86
	v_or3_b32 v2, v2, v73, v4
	v_lshlrev_b32_e32 v4, 24, v16
	s_delay_alu instid0(VALU_DEP_4)
	v_or3_b32 v5, v5, v19, v17
	v_add_nc_u64_e32 v[118:119], v[118:119], v[86:87]
	v_lshl_add_u64 v[16:17], v[64:65], 4, v[42:43]
	v_or3_b32 v2, v2, v18, 0
	v_add_nc_u32_e32 v64, v64, v20
	v_or3_b32 v4, v5, v4, 0
	v_mov_b32_e32 v5, v3
	v_cmp_gt_i32_e32 vcc_lo, 1, v72
	global_store_b128 v[16:17], v[2:5], off
	s_or_b32 s20, vcc_lo, s20
	s_wait_xcnt 0x0
	s_and_not1_b32 exec_lo, exec_lo, s20
	s_cbranch_execz .LBB0_955
.LBB0_380:                              ;   Parent Loop BB0_46 Depth=1
                                        ;     Parent Loop BB0_335 Depth=2
                                        ; =>    This Loop Header: Depth=3
                                        ;         Child Loop BB0_388 Depth 4
	s_delay_alu instid0(VALU_DEP_3)
	v_dual_mov_b32 v5, v119 :: v_dual_bitop2_b32 v4, -4, v118 bitop3:0x40
	v_min_u32_e32 v16, 8, v72
	v_dual_mov_b32 v74, 0 :: v_dual_bitop2_b32 v17, 3, v118 bitop3:0x40
	v_mov_b32_e32 v76, 0
	global_load_b32 v2, v[4:5], off th:TH_LOAD_NT
	s_mov_b32 s8, exec_lo
	v_add_nc_u32_e32 v16, v17, v16
	s_wait_xcnt 0x0
	s_delay_alu instid0(VALU_DEP_1)
	v_cmpx_lt_u32_e32 4, v16
	s_cbranch_execz .LBB0_382
; %bb.381:                              ;   in Loop: Header=BB0_380 Depth=3
	global_load_b32 v76, v[4:5], off offset:4 th:TH_LOAD_NT
.LBB0_382:                              ;   in Loop: Header=BB0_380 Depth=3
	s_wait_xcnt 0x0
	s_or_b32 exec_lo, exec_lo, s8
	v_mov_b32_e32 v17, v65
	s_mov_b32 s8, exec_lo
	s_delay_alu instid0(VALU_DEP_1)
	v_cmpx_lt_u64_e32 8, v[16:17]
	s_cbranch_execz .LBB0_384
; %bb.383:                              ;   in Loop: Header=BB0_380 Depth=3
	global_load_b32 v74, v[4:5], off offset:8 th:TH_LOAD_NT
.LBB0_384:                              ;   in Loop: Header=BB0_380 Depth=3
	s_wait_xcnt 0x0
	s_or_b32 exec_lo, exec_lo, s8
	v_lshl_add_u64 v[4:5], v[64:65], 4, v[40:41]
	v_cmp_eq_u32_e32 vcc_lo, 0, v60
	v_mov_b32_e32 v60, 1
	global_load_b128 v[16:19], v[4:5], off th:TH_LOAD_NT
	s_wait_xcnt 0x0
	s_and_saveexec_b32 s21, vcc_lo
	s_cbranch_execz .LBB0_396
; %bb.385:                              ;   in Loop: Header=BB0_380 Depth=3
	s_wait_loadcnt 0x0
	v_cmp_ne_u32_e32 vcc_lo, v63, v17
	v_cmp_ne_u32_e64 s8, v63, v19
	v_mov_b32_e32 v60, 0
	s_or_b32 s8, vcc_lo, s8
	s_delay_alu instid0(SALU_CYCLE_1)
	s_and_saveexec_b32 s22, s8
	s_cbranch_execz .LBB0_395
; %bb.386:                              ;   in Loop: Header=BB0_380 Depth=3
	s_mov_b32 s26, 1
	s_mov_b32 s24, 0
                                        ; implicit-def: $sgpr23
                                        ; implicit-def: $sgpr25
	s_branch .LBB0_388
.LBB0_387:                              ;   in Loop: Header=BB0_388 Depth=4
	s_or_b32 exec_lo, exec_lo, s28
	s_delay_alu instid0(SALU_CYCLE_1) | instskip(NEXT) | instid1(SALU_CYCLE_1)
	s_and_b32 s8, exec_lo, s8
	s_or_b32 s24, s8, s24
	s_and_not1_b32 s8, s23, exec_lo
	s_and_b32 s23, s25, exec_lo
	s_delay_alu instid0(SALU_CYCLE_1)
	s_or_b32 s23, s8, s23
	s_and_not1_b32 exec_lo, exec_lo, s24
	s_cbranch_execz .LBB0_392
.LBB0_388:                              ;   Parent Loop BB0_46 Depth=1
                                        ;     Parent Loop BB0_335 Depth=2
                                        ;       Parent Loop BB0_380 Depth=3
                                        ; =>      This Inner Loop Header: Depth=4
	s_wait_loadcnt 0x0
	global_load_b128 v[16:19], v[4:5], off th:TH_LOAD_NT
	s_add_co_i32 s26, s26, 1
	s_mov_b32 s8, -1
	s_cmp_lg_u32 s26, 0x2710
	s_mov_b32 s27, -1
                                        ; implicit-def: $vgpr44
	s_cbranch_scc0 .LBB0_390
; %bb.389:                              ;   in Loop: Header=BB0_388 Depth=4
	s_or_b32 s25, s25, exec_lo
	s_wait_xcnt 0x0
	s_and_saveexec_b32 s28, s27
	s_cbranch_execz .LBB0_387
	s_branch .LBB0_391
.LBB0_390:                              ;   in Loop: Header=BB0_388 Depth=4
	s_trap 2
	ds_load_b64 v[44:45], v0
	s_mov_b32 s26, 0
	s_wait_storecnt 0x0
	s_wait_loadcnt_dscnt 0x0
	flat_load_b32 v44, v[44:45] scope:SCOPE_SYS
	s_wait_loadcnt_dscnt 0x0
	global_inv scope:SCOPE_SYS
	v_cmp_eq_u32_e32 vcc_lo, 0, v44
	s_or_not1_b32 s27, vcc_lo, exec_lo
	s_or_b32 s25, s25, exec_lo
	s_wait_xcnt 0x0
	s_and_saveexec_b32 s28, s27
	s_cbranch_execz .LBB0_387
.LBB0_391:                              ;   in Loop: Header=BB0_388 Depth=4
	s_wait_loadcnt 0x0
	v_cmp_eq_u32_e32 vcc_lo, v63, v17
	v_cmp_eq_u32_e64 s8, v63, v19
	s_and_not1_b32 s25, s25, exec_lo
	s_and_b32 s8, vcc_lo, s8
	s_delay_alu instid0(SALU_CYCLE_1)
	s_or_not1_b32 s8, s8, exec_lo
	s_branch .LBB0_387
.LBB0_392:                              ;   in Loop: Header=BB0_380 Depth=3
	s_or_b32 exec_lo, exec_lo, s24
	v_mov_b32_e32 v60, 0
	s_and_saveexec_b32 s8, s23
	s_delay_alu instid0(SALU_CYCLE_1)
	s_xor_b32 s8, exec_lo, s8
	s_cbranch_execz .LBB0_394
; %bb.393:                              ;   in Loop: Header=BB0_380 Depth=3
	v_mov_b32_e32 v60, 1
	s_wait_loadcnt 0x0
	s_wait_storecnt 0x0
	ds_store_b32 v0, v44
	s_trap 2
.LBB0_394:                              ;   in Loop: Header=BB0_380 Depth=3
	s_or_b32 exec_lo, exec_lo, s8
.LBB0_395:                              ;   in Loop: Header=BB0_380 Depth=3
	s_delay_alu instid0(SALU_CYCLE_1)
	s_or_b32 exec_lo, exec_lo, s22
.LBB0_396:                              ;   in Loop: Header=BB0_380 Depth=3
	s_delay_alu instid0(SALU_CYCLE_1) | instskip(SKIP_2) | instid1(VALU_DEP_1)
	s_or_b32 exec_lo, exec_lo, s21
	v_dual_lshlrev_b32 v77, 3, v118 :: v_dual_mov_b32 v5, v65
	s_wait_loadcnt 0x1
	v_alignbit_b32 v4, v76, v2, v77
	s_delay_alu instid0(VALU_DEP_1) | instskip(NEXT) | instid1(VALU_DEP_1)
	v_and_b32_e32 v2, 0xff, v4
	v_cmp_ne_u16_e32 vcc_lo, 0, v2
	v_mov_b32_e32 v2, 0
	s_and_saveexec_b32 s8, vcc_lo
	s_cbranch_execz .LBB0_406
; %bb.397:                              ;   in Loop: Header=BB0_380 Depth=3
	v_bfe_i32 v45, v4, 0, 8
	v_bfrev_b32_e32 v2, 1
	s_mov_b32 s21, exec_lo
	s_delay_alu instid0(VALU_DEP_2)
	v_cmpx_ne_u16_e32 0xff80, v45
	s_cbranch_execz .LBB0_405
; %bb.398:                              ;   in Loop: Header=BB0_380 Depth=3
	v_and_b32_e32 v2, 0x7c, v4
	v_and_b32_e32 v44, 3, v4
	s_delay_alu instid0(VALU_DEP_2) | instskip(SKIP_1) | instid1(SALU_CYCLE_1)
	v_cmp_ne_u32_e32 vcc_lo, 0x7c, v2
                                        ; implicit-def: $vgpr2
	s_and_saveexec_b32 s22, vcc_lo
	s_xor_b32 s22, exec_lo, s22
	s_cbranch_execz .LBB0_402
; %bb.399:                              ;   in Loop: Header=BB0_380 Depth=3
	v_bfe_u32 v2, v4, 2, 5
	s_mov_b32 s23, exec_lo
	s_delay_alu instid0(VALU_DEP_1)
	v_cmpx_eq_u32_e32 0, v2
; %bb.400:                              ;   in Loop: Header=BB0_380 Depth=3
	v_clz_i32_u32_e32 v2, v44
	s_delay_alu instid0(VALU_DEP_1) | instskip(NEXT) | instid1(VALU_DEP_1)
	v_min_u32_e32 v2, 32, v2
	v_subrev_nc_u32_e32 v44, 29, v2
	s_delay_alu instid0(VALU_DEP_1) | instskip(NEXT) | instid1(VALU_DEP_1)
	v_lshlrev_b64_e32 v[44:45], v44, v[4:5]
	v_dual_sub_nc_u32 v2, 30, v2 :: v_dual_bitop2_b32 v44, 3, v44 bitop3:0x40
; %bb.401:                              ;   in Loop: Header=BB0_380 Depth=3
	s_or_b32 exec_lo, exec_lo, s23
	v_lshlrev_b32_e32 v5, 24, v4
                                        ; implicit-def: $vgpr45
	s_delay_alu instid0(VALU_DEP_1) | instskip(NEXT) | instid1(VALU_DEP_1)
	v_and_b32_e32 v5, 0x80000000, v5
	v_lshl_add_u32 v2, v2, 23, v5
	s_delay_alu instid0(VALU_DEP_1) | instskip(NEXT) | instid1(VALU_DEP_1)
	v_lshl_or_b32 v2, v44, 21, v2
                                        ; implicit-def: $vgpr44
	v_add_nc_u32_e32 v2, 0x38000000, v2
.LBB0_402:                              ;   in Loop: Header=BB0_380 Depth=3
	s_and_not1_saveexec_b32 s22, s22
; %bb.403:                              ;   in Loop: Header=BB0_380 Depth=3
	v_cmp_lt_i16_e32 vcc_lo, -1, v45
	v_cndmask_b32_e32 v2, 0xff800000, v21, vcc_lo
	v_cmp_eq_u32_e32 vcc_lo, 0, v44
	s_delay_alu instid0(VALU_DEP_2)
	v_cndmask_b32_e32 v2, 0x7f800001, v2, vcc_lo
; %bb.404:                              ;   in Loop: Header=BB0_380 Depth=3
	s_or_b32 exec_lo, exec_lo, s22
.LBB0_405:                              ;   in Loop: Header=BB0_380 Depth=3
	s_delay_alu instid0(SALU_CYCLE_1)
	s_or_b32 exec_lo, exec_lo, s21
.LBB0_406:                              ;   in Loop: Header=BB0_380 Depth=3
	s_delay_alu instid0(SALU_CYCLE_1) | instskip(NEXT) | instid1(VALU_DEP_1)
	s_or_b32 exec_lo, exec_lo, s8
	v_dual_mul_f32 v5, v56, v2 :: v_dual_mov_b32 v47, v65
	v_mov_b32_e32 v45, v65
                                        ; implicit-def: $vgpr73
	s_mov_b32 s8, exec_lo
	s_delay_alu instid0(VALU_DEP_2) | instskip(SKIP_2) | instid1(VALU_DEP_3)
	v_and_b32_e32 v46, 0x7f800000, v5
	v_and_b32_e32 v44, 0x7fffff, v5
	v_lshrrev_b32_e32 v2, 24, v5
	v_cmpx_ne_u64_e32 0x7f800000, v[46:47]
	s_xor_b32 s21, exec_lo, s8
	s_cbranch_execz .LBB0_420
; %bb.407:                              ;   in Loop: Header=BB0_380 Depth=3
	v_and_b32_e32 v46, 0x7fffffff, v5
	v_mov_b32_e32 v47, v65
	v_and_b32_e32 v2, 0x80, v2
                                        ; implicit-def: $vgpr73
	s_mov_b32 s8, exec_lo
	s_delay_alu instid0(VALU_DEP_2)
	v_cmpx_gt_u64_e32 0x47600001, v[46:47]
	s_xor_b32 s22, exec_lo, s8
	s_cbranch_execz .LBB0_417
; %bb.408:                              ;   in Loop: Header=BB0_380 Depth=3
	v_mov_b32_e32 v73, 0
	s_mov_b32 s23, exec_lo
	v_cmpx_ne_u32_e32 0, v5
	s_cbranch_execz .LBB0_416
; %bb.409:                              ;   in Loop: Header=BB0_380 Depth=3
	v_bfe_u32 v5, v5, 23, 8
	v_or_b32_e32 v75, 0x800000, v44
	s_delay_alu instid0(VALU_DEP_2) | instskip(SKIP_1) | instid1(VALU_DEP_2)
	v_sub_nc_u32_e32 v46, 0x71, v5
	v_cmp_gt_u32_e32 vcc_lo, 0x72, v5
	v_cndmask_b32_e32 v46, 0, v46, vcc_lo
	v_cmp_eq_u32_e32 vcc_lo, 0, v5
	s_delay_alu instid0(VALU_DEP_2) | instskip(NEXT) | instid1(VALU_DEP_1)
	v_cndmask_b32_e64 v73, v46, 0x70, vcc_lo
	v_dual_cndmask_b32 v44, v75, v44, vcc_lo :: v_dual_add_nc_u32 v46, 21, v73
	v_add_nc_u32_e32 v78, 20, v73
	s_delay_alu instid0(VALU_DEP_2) | instskip(NEXT) | instid1(VALU_DEP_2)
	v_lshlrev_b64_e64 v[46:47], v46, -1
	v_lshlrev_b64_e64 v[78:79], v78, 1
	s_delay_alu instid0(VALU_DEP_2) | instskip(SKIP_1) | instid1(VALU_DEP_4)
	v_bfi_b32 v46, v46, 0, v44
	v_lshrrev_b64 v[44:45], v73, v[44:45]
	v_bfi_b32 v47, v47, 0, 0
	s_delay_alu instid0(VALU_DEP_1) | instskip(NEXT) | instid1(VALU_DEP_3)
	v_cmp_eq_u64_e64 s8, v[46:47], v[78:79]
	v_mov_b64_e32 v[46:47], v[44:45]
	s_and_saveexec_b32 s24, s8
; %bb.410:                              ;   in Loop: Header=BB0_380 Depth=3
	v_bfe_u32 v46, v44, 21, 1
	v_mov_b32_e32 v47, v65
	s_delay_alu instid0(VALU_DEP_1) | instskip(NEXT) | instid1(VALU_DEP_1)
	v_add_nc_u64_e32 v[46:47], v[44:45], v[46:47]
	v_add_nc_u64_e32 v[46:47], -1, v[46:47]
; %bb.411:                              ;   in Loop: Header=BB0_380 Depth=3
	s_or_b32 exec_lo, exec_lo, s24
	v_add_nc_u32_e32 v5, 0xffffff81, v5
	v_lshrrev_b32_e32 v45, 23, v44
	s_mov_b32 s8, exec_lo
	s_delay_alu instid0(VALU_DEP_2) | instskip(NEXT) | instid1(VALU_DEP_1)
	v_cndmask_b32_e64 v5, v5, 0xffffff82, vcc_lo
	v_add3_u32 v47, v73, v5, v45
	v_and_b32_e32 v5, 0x1fffff, v46
	s_delay_alu instid0(VALU_DEP_2) | instskip(NEXT) | instid1(VALU_DEP_2)
	v_dual_mov_b32 v45, v65 :: v_dual_add_nc_u32 v46, 14, v47
	v_add_nc_u32_e32 v44, v5, v44
                                        ; implicit-def: $vgpr5
	s_delay_alu instid0(VALU_DEP_2)
	v_cmpx_ne_u32_e32 0, v46
	s_xor_b32 s8, exec_lo, s8
; %bb.412:                              ;   in Loop: Header=BB0_380 Depth=3
	s_delay_alu instid0(VALU_DEP_2) | instskip(SKIP_1) | instid1(VALU_DEP_1)
	v_cmp_lt_u64_e32 vcc_lo, 0xffffff, v[44:45]
	v_add_nc_u32_e32 v5, 15, v47
	v_cndmask_b32_e32 v5, v46, v5, vcc_lo
	v_cndmask_b32_e64 v46, 0, 1, vcc_lo
	s_delay_alu instid0(VALU_DEP_1)
	v_lshrrev_b64 v[44:45], v46, v[44:45]
; %bb.413:                              ;   in Loop: Header=BB0_380 Depth=3
	s_and_not1_saveexec_b32 s8, s8
; %bb.414:                              ;   in Loop: Header=BB0_380 Depth=3
	s_delay_alu instid0(VALU_DEP_1)
	v_bfe_u32 v5, v44, 23, 1
; %bb.415:                              ;   in Loop: Header=BB0_380 Depth=3
	s_or_b32 exec_lo, exec_lo, s8
	s_delay_alu instid0(VALU_DEP_2) | instskip(NEXT) | instid1(VALU_DEP_2)
	v_lshrrev_b64 v[44:45], 21, v[44:45]
	v_cmp_gt_i32_e32 vcc_lo, 32, v5
	v_min_i32_e32 v46, 31, v5
	v_cmp_eq_u32_e64 s8, 0, v5
	s_delay_alu instid0(VALU_DEP_2) | instskip(SKIP_1) | instid1(VALU_DEP_2)
	v_dual_cndmask_b32 v44, 3, v44, vcc_lo :: v_dual_lshlrev_b32 v46, 2, v46
	v_cndmask_b32_e32 v45, 0, v45, vcc_lo
	v_and_b32_e32 v46, 0xfc, v46
	s_delay_alu instid0(VALU_DEP_2) | instskip(NEXT) | instid1(VALU_DEP_2)
	v_cmp_eq_u64_e32 vcc_lo, 0, v[44:45]
	v_and_or_b32 v5, v44, 3, v46
	s_and_b32 s8, s8, vcc_lo
	s_delay_alu instid0(VALU_DEP_1) | instid1(SALU_CYCLE_1)
	v_cndmask_b32_e64 v5, v5, 0, s8
	s_delay_alu instid0(VALU_DEP_1)
	v_or_b32_e32 v73, v5, v2
.LBB0_416:                              ;   in Loop: Header=BB0_380 Depth=3
	s_or_b32 exec_lo, exec_lo, s23
                                        ; implicit-def: $vgpr2
.LBB0_417:                              ;   in Loop: Header=BB0_380 Depth=3
	s_and_not1_saveexec_b32 s8, s22
; %bb.418:                              ;   in Loop: Header=BB0_380 Depth=3
	v_or_b32_e32 v73, 0x7b, v2
; %bb.419:                              ;   in Loop: Header=BB0_380 Depth=3
	s_or_b32 exec_lo, exec_lo, s8
                                        ; implicit-def: $vgpr5
                                        ; implicit-def: $vgpr44_vgpr45
                                        ; implicit-def: $vgpr2
.LBB0_420:                              ;   in Loop: Header=BB0_380 Depth=3
	s_and_not1_saveexec_b32 s8, s21
	s_cbranch_execz .LBB0_426
; %bb.421:                              ;   in Loop: Header=BB0_380 Depth=3
	s_mov_b32 s21, exec_lo
                                        ; implicit-def: $vgpr73
	v_cmpx_ne_u64_e32 0, v[44:45]
	s_xor_b32 s21, exec_lo, s21
; %bb.422:                              ;   in Loop: Header=BB0_380 Depth=3
	v_or_b32_e32 v73, 0x7f, v2
                                        ; implicit-def: $vgpr5
; %bb.423:                              ;   in Loop: Header=BB0_380 Depth=3
	s_and_not1_saveexec_b32 s21, s21
; %bb.424:                              ;   in Loop: Header=BB0_380 Depth=3
	v_cmp_lt_i32_e32 vcc_lo, -1, v5
	v_cndmask_b32_e32 v73, 0xfc, v59, vcc_lo
; %bb.425:                              ;   in Loop: Header=BB0_380 Depth=3
	s_or_b32 exec_lo, exec_lo, s21
.LBB0_426:                              ;   in Loop: Header=BB0_380 Depth=3
	s_delay_alu instid0(SALU_CYCLE_1) | instskip(SKIP_3) | instid1(VALU_DEP_2)
	s_or_b32 exec_lo, exec_lo, s8
	v_lshrrev_b16 v44, 8, v4
	v_mov_b32_e32 v5, 0
	s_mov_b32 s8, exec_lo
	v_cmpx_ne_u16_e32 0, v44
	s_cbranch_execz .LBB0_436
; %bb.427:                              ;   in Loop: Header=BB0_380 Depth=3
	v_bfrev_b32_e32 v5, 1
	s_mov_b32 s21, exec_lo
	v_cmpx_ne_u16_e32 0x80, v44
	s_cbranch_execz .LBB0_435
; %bb.428:                              ;   in Loop: Header=BB0_380 Depth=3
	v_and_b32_e32 v45, 0xffff, v44
	s_delay_alu instid0(VALU_DEP_1) | instskip(SKIP_1) | instid1(VALU_DEP_2)
	v_and_b32_e32 v5, 0x7c, v45
	v_and_b32_e32 v2, 3, v45
	v_cmp_ne_u32_e32 vcc_lo, 0x7c, v5
                                        ; implicit-def: $vgpr5
	s_and_saveexec_b32 s22, vcc_lo
	s_delay_alu instid0(SALU_CYCLE_1)
	s_xor_b32 s22, exec_lo, s22
	s_cbranch_execz .LBB0_432
; %bb.429:                              ;   in Loop: Header=BB0_380 Depth=3
	v_bfe_u32 v5, v45, 2, 5
	s_mov_b32 s23, exec_lo
	s_delay_alu instid0(VALU_DEP_1)
	v_cmpx_eq_u32_e32 0, v5
; %bb.430:                              ;   in Loop: Header=BB0_380 Depth=3
	v_clz_i32_u32_e32 v2, v2
	s_delay_alu instid0(VALU_DEP_1) | instskip(SKIP_1) | instid1(VALU_DEP_2)
	v_min_u32_e32 v2, 32, v2
	v_mov_b32_e32 v45, v65
	v_subrev_nc_u32_e32 v5, 29, v2
	s_delay_alu instid0(VALU_DEP_1) | instskip(NEXT) | instid1(VALU_DEP_1)
	v_lshlrev_b64_e32 v[44:45], v5, v[44:45]
	v_dual_sub_nc_u32 v5, 30, v2 :: v_dual_bitop2_b32 v2, 3, v44 bitop3:0x40
; %bb.431:                              ;   in Loop: Header=BB0_380 Depth=3
	s_or_b32 exec_lo, exec_lo, s23
	v_lshlrev_b32_e32 v44, 16, v4
	s_delay_alu instid0(VALU_DEP_1) | instskip(NEXT) | instid1(VALU_DEP_1)
	v_and_b32_e32 v44, 0x80000000, v44
	v_lshl_add_u32 v5, v5, 23, v44
	s_delay_alu instid0(VALU_DEP_1) | instskip(NEXT) | instid1(VALU_DEP_1)
	v_lshl_or_b32 v2, v2, 21, v5
	v_add_nc_u32_e32 v5, 0x38000000, v2
                                        ; implicit-def: $vgpr2
.LBB0_432:                              ;   in Loop: Header=BB0_380 Depth=3
	s_and_not1_saveexec_b32 s22, s22
; %bb.433:                              ;   in Loop: Header=BB0_380 Depth=3
	v_cmp_lt_i16_e32 vcc_lo, -1, v4
	v_cndmask_b32_e32 v5, 0xff800000, v21, vcc_lo
	v_cmp_eq_u32_e32 vcc_lo, 0, v2
	s_delay_alu instid0(VALU_DEP_2)
	v_cndmask_b32_e32 v5, 0x7f800001, v5, vcc_lo
; %bb.434:                              ;   in Loop: Header=BB0_380 Depth=3
	s_or_b32 exec_lo, exec_lo, s22
.LBB0_435:                              ;   in Loop: Header=BB0_380 Depth=3
	s_delay_alu instid0(SALU_CYCLE_1)
	s_or_b32 exec_lo, exec_lo, s21
.LBB0_436:                              ;   in Loop: Header=BB0_380 Depth=3
	s_delay_alu instid0(SALU_CYCLE_1) | instskip(NEXT) | instid1(VALU_DEP_1)
	s_or_b32 exec_lo, exec_lo, s8
	v_dual_mul_f32 v5, v56, v5 :: v_dual_mov_b32 v47, v65
	v_mov_b32_e32 v45, v65
                                        ; implicit-def: $vgpr75
	s_mov_b32 s8, exec_lo
	s_delay_alu instid0(VALU_DEP_2) | instskip(SKIP_2) | instid1(VALU_DEP_3)
	v_and_b32_e32 v46, 0x7f800000, v5
	v_and_b32_e32 v44, 0x7fffff, v5
	v_lshrrev_b32_e32 v2, 24, v5
	v_cmpx_ne_u64_e32 0x7f800000, v[46:47]
	s_xor_b32 s21, exec_lo, s8
	s_cbranch_execz .LBB0_450
; %bb.437:                              ;   in Loop: Header=BB0_380 Depth=3
	v_and_b32_e32 v46, 0x7fffffff, v5
	v_mov_b32_e32 v47, v65
	v_and_b32_e32 v2, 0x80, v2
                                        ; implicit-def: $vgpr75
	s_mov_b32 s8, exec_lo
	s_delay_alu instid0(VALU_DEP_2)
	v_cmpx_gt_u64_e32 0x47600001, v[46:47]
	s_xor_b32 s22, exec_lo, s8
	s_cbranch_execz .LBB0_447
; %bb.438:                              ;   in Loop: Header=BB0_380 Depth=3
	v_mov_b32_e32 v75, 0
	s_mov_b32 s23, exec_lo
	v_cmpx_ne_u32_e32 0, v5
	s_cbranch_execz .LBB0_446
; %bb.439:                              ;   in Loop: Header=BB0_380 Depth=3
	v_bfe_u32 v5, v5, 23, 8
	v_or_b32_e32 v78, 0x800000, v44
	s_delay_alu instid0(VALU_DEP_2) | instskip(SKIP_1) | instid1(VALU_DEP_2)
	v_sub_nc_u32_e32 v46, 0x71, v5
	v_cmp_gt_u32_e32 vcc_lo, 0x72, v5
	v_cndmask_b32_e32 v46, 0, v46, vcc_lo
	v_cmp_eq_u32_e32 vcc_lo, 0, v5
	s_delay_alu instid0(VALU_DEP_2) | instskip(NEXT) | instid1(VALU_DEP_1)
	v_cndmask_b32_e64 v75, v46, 0x70, vcc_lo
	v_dual_cndmask_b32 v44, v78, v44, vcc_lo :: v_dual_add_nc_u32 v46, 21, v75
	v_add_nc_u32_e32 v79, 20, v75
	s_delay_alu instid0(VALU_DEP_2) | instskip(NEXT) | instid1(VALU_DEP_2)
	v_lshlrev_b64_e64 v[46:47], v46, -1
	v_lshlrev_b64_e64 v[78:79], v79, 1
	s_delay_alu instid0(VALU_DEP_2) | instskip(SKIP_1) | instid1(VALU_DEP_4)
	v_bfi_b32 v46, v46, 0, v44
	v_lshrrev_b64 v[44:45], v75, v[44:45]
	v_bfi_b32 v47, v47, 0, 0
	s_delay_alu instid0(VALU_DEP_1) | instskip(NEXT) | instid1(VALU_DEP_3)
	v_cmp_eq_u64_e64 s8, v[46:47], v[78:79]
	v_mov_b64_e32 v[46:47], v[44:45]
	s_and_saveexec_b32 s24, s8
; %bb.440:                              ;   in Loop: Header=BB0_380 Depth=3
	v_bfe_u32 v46, v44, 21, 1
	v_mov_b32_e32 v47, v65
	s_delay_alu instid0(VALU_DEP_1) | instskip(NEXT) | instid1(VALU_DEP_1)
	v_add_nc_u64_e32 v[46:47], v[44:45], v[46:47]
	v_add_nc_u64_e32 v[46:47], -1, v[46:47]
; %bb.441:                              ;   in Loop: Header=BB0_380 Depth=3
	s_or_b32 exec_lo, exec_lo, s24
	v_add_nc_u32_e32 v5, 0xffffff81, v5
	v_lshrrev_b32_e32 v45, 23, v44
	s_mov_b32 s8, exec_lo
	s_delay_alu instid0(VALU_DEP_2) | instskip(NEXT) | instid1(VALU_DEP_1)
	v_cndmask_b32_e64 v5, v5, 0xffffff82, vcc_lo
	v_add3_u32 v47, v75, v5, v45
	v_and_b32_e32 v5, 0x1fffff, v46
	s_delay_alu instid0(VALU_DEP_2) | instskip(NEXT) | instid1(VALU_DEP_2)
	v_dual_mov_b32 v45, v65 :: v_dual_add_nc_u32 v46, 14, v47
	v_add_nc_u32_e32 v44, v5, v44
                                        ; implicit-def: $vgpr5
	s_delay_alu instid0(VALU_DEP_2)
	v_cmpx_ne_u32_e32 0, v46
	s_xor_b32 s8, exec_lo, s8
; %bb.442:                              ;   in Loop: Header=BB0_380 Depth=3
	s_delay_alu instid0(VALU_DEP_2) | instskip(SKIP_1) | instid1(VALU_DEP_1)
	v_cmp_lt_u64_e32 vcc_lo, 0xffffff, v[44:45]
	v_add_nc_u32_e32 v5, 15, v47
	v_cndmask_b32_e32 v5, v46, v5, vcc_lo
	v_cndmask_b32_e64 v46, 0, 1, vcc_lo
	s_delay_alu instid0(VALU_DEP_1)
	v_lshrrev_b64 v[44:45], v46, v[44:45]
; %bb.443:                              ;   in Loop: Header=BB0_380 Depth=3
	s_and_not1_saveexec_b32 s8, s8
; %bb.444:                              ;   in Loop: Header=BB0_380 Depth=3
	s_delay_alu instid0(VALU_DEP_1)
	v_bfe_u32 v5, v44, 23, 1
; %bb.445:                              ;   in Loop: Header=BB0_380 Depth=3
	s_or_b32 exec_lo, exec_lo, s8
	s_delay_alu instid0(VALU_DEP_2) | instskip(NEXT) | instid1(VALU_DEP_2)
	v_lshrrev_b64 v[44:45], 21, v[44:45]
	v_cmp_gt_i32_e32 vcc_lo, 32, v5
	v_min_i32_e32 v46, 31, v5
	v_cmp_eq_u32_e64 s8, 0, v5
	s_delay_alu instid0(VALU_DEP_2) | instskip(SKIP_1) | instid1(VALU_DEP_2)
	v_dual_cndmask_b32 v44, 3, v44, vcc_lo :: v_dual_lshlrev_b32 v46, 2, v46
	v_cndmask_b32_e32 v45, 0, v45, vcc_lo
	v_and_b32_e32 v46, 0xfc, v46
	s_delay_alu instid0(VALU_DEP_2) | instskip(NEXT) | instid1(VALU_DEP_2)
	v_cmp_eq_u64_e32 vcc_lo, 0, v[44:45]
	v_and_or_b32 v5, v44, 3, v46
	s_and_b32 s8, s8, vcc_lo
	s_delay_alu instid0(VALU_DEP_1) | instid1(SALU_CYCLE_1)
	v_cndmask_b32_e64 v5, v5, 0, s8
	s_delay_alu instid0(VALU_DEP_1)
	v_or_b32_e32 v75, v5, v2
.LBB0_446:                              ;   in Loop: Header=BB0_380 Depth=3
	s_or_b32 exec_lo, exec_lo, s23
                                        ; implicit-def: $vgpr2
.LBB0_447:                              ;   in Loop: Header=BB0_380 Depth=3
	s_and_not1_saveexec_b32 s8, s22
; %bb.448:                              ;   in Loop: Header=BB0_380 Depth=3
	v_or_b32_e32 v75, 0x7b, v2
; %bb.449:                              ;   in Loop: Header=BB0_380 Depth=3
	s_or_b32 exec_lo, exec_lo, s8
                                        ; implicit-def: $vgpr5
                                        ; implicit-def: $vgpr44_vgpr45
                                        ; implicit-def: $vgpr2
.LBB0_450:                              ;   in Loop: Header=BB0_380 Depth=3
	s_and_not1_saveexec_b32 s8, s21
	s_cbranch_execz .LBB0_456
; %bb.451:                              ;   in Loop: Header=BB0_380 Depth=3
	s_mov_b32 s21, exec_lo
                                        ; implicit-def: $vgpr75
	v_cmpx_ne_u64_e32 0, v[44:45]
	s_xor_b32 s21, exec_lo, s21
; %bb.452:                              ;   in Loop: Header=BB0_380 Depth=3
	v_or_b32_e32 v75, 0x7f, v2
                                        ; implicit-def: $vgpr5
; %bb.453:                              ;   in Loop: Header=BB0_380 Depth=3
	s_and_not1_saveexec_b32 s21, s21
; %bb.454:                              ;   in Loop: Header=BB0_380 Depth=3
	v_cmp_lt_i32_e32 vcc_lo, -1, v5
	v_cndmask_b32_e32 v75, 0xfc, v59, vcc_lo
; %bb.455:                              ;   in Loop: Header=BB0_380 Depth=3
	s_or_b32 exec_lo, exec_lo, s21
.LBB0_456:                              ;   in Loop: Header=BB0_380 Depth=3
	s_delay_alu instid0(SALU_CYCLE_1) | instskip(SKIP_2) | instid1(VALU_DEP_1)
	s_or_b32 exec_lo, exec_lo, s8
	v_dual_lshrrev_b32 v44, 16, v4 :: v_dual_mov_b32 v2, 0
	s_mov_b32 s8, exec_lo
	v_and_b32_e32 v5, 0xff, v44
	s_delay_alu instid0(VALU_DEP_1)
	v_cmpx_ne_u16_e32 0, v5
	s_cbranch_execz .LBB0_466
; %bb.457:                              ;   in Loop: Header=BB0_380 Depth=3
	v_bfrev_b32_e32 v2, 1
	s_mov_b32 s21, exec_lo
	v_cmpx_ne_u16_e32 0x80, v5
	s_cbranch_execz .LBB0_465
; %bb.458:                              ;   in Loop: Header=BB0_380 Depth=3
	v_and_b32_e32 v2, 0x7c0000, v4
	v_bfe_u32 v5, v4, 16, 2
	s_delay_alu instid0(VALU_DEP_2) | instskip(SKIP_1) | instid1(SALU_CYCLE_1)
	v_cmp_ne_u32_e32 vcc_lo, 0x7c0000, v2
                                        ; implicit-def: $vgpr2
	s_and_saveexec_b32 s22, vcc_lo
	s_xor_b32 s22, exec_lo, s22
	s_cbranch_execz .LBB0_462
; %bb.459:                              ;   in Loop: Header=BB0_380 Depth=3
	v_bfe_u32 v44, v4, 18, 5
	v_lshrrev_b32_e32 v2, 16, v4
	s_mov_b32 s23, exec_lo
	s_delay_alu instid0(VALU_DEP_2)
	v_cmpx_eq_u32_e32 0, v44
; %bb.460:                              ;   in Loop: Header=BB0_380 Depth=3
	v_clz_i32_u32_e32 v5, v5
	s_delay_alu instid0(VALU_DEP_1) | instskip(NEXT) | instid1(VALU_DEP_1)
	v_min_u32_e32 v5, 32, v5
	v_subrev_nc_u32_e32 v44, 29, v5
	s_delay_alu instid0(VALU_DEP_1) | instskip(NEXT) | instid1(VALU_DEP_1)
	v_lshlrev_b64_e32 v[46:47], v44, v[2:3]
	v_dual_sub_nc_u32 v44, 30, v5 :: v_dual_bitop2_b32 v5, 3, v46 bitop3:0x40
; %bb.461:                              ;   in Loop: Header=BB0_380 Depth=3
	s_or_b32 exec_lo, exec_lo, s23
	v_lshlrev_b32_e32 v2, 24, v2
	s_delay_alu instid0(VALU_DEP_1) | instskip(NEXT) | instid1(VALU_DEP_1)
	v_and_b32_e32 v2, 0x80000000, v2
	v_lshl_add_u32 v2, v44, 23, v2
                                        ; implicit-def: $vgpr44
	s_delay_alu instid0(VALU_DEP_1) | instskip(NEXT) | instid1(VALU_DEP_1)
	v_lshl_or_b32 v2, v5, 21, v2
                                        ; implicit-def: $vgpr5
	v_add_nc_u32_e32 v2, 0x38000000, v2
.LBB0_462:                              ;   in Loop: Header=BB0_380 Depth=3
	s_and_not1_saveexec_b32 s22, s22
; %bb.463:                              ;   in Loop: Header=BB0_380 Depth=3
	v_bfe_i32 v2, v44, 0, 8
	s_delay_alu instid0(VALU_DEP_1) | instskip(SKIP_2) | instid1(VALU_DEP_2)
	v_cmp_lt_i16_e32 vcc_lo, -1, v2
	v_cndmask_b32_e32 v2, 0xff800000, v21, vcc_lo
	v_cmp_eq_u32_e32 vcc_lo, 0, v5
	v_cndmask_b32_e32 v2, 0x7f800001, v2, vcc_lo
; %bb.464:                              ;   in Loop: Header=BB0_380 Depth=3
	s_or_b32 exec_lo, exec_lo, s22
.LBB0_465:                              ;   in Loop: Header=BB0_380 Depth=3
	s_delay_alu instid0(SALU_CYCLE_1)
	s_or_b32 exec_lo, exec_lo, s21
.LBB0_466:                              ;   in Loop: Header=BB0_380 Depth=3
	s_delay_alu instid0(SALU_CYCLE_1) | instskip(NEXT) | instid1(VALU_DEP_1)
	s_or_b32 exec_lo, exec_lo, s8
	v_dual_mul_f32 v5, v56, v2 :: v_dual_mov_b32 v47, v65
	v_mov_b32_e32 v45, v65
                                        ; implicit-def: $vgpr79
	s_mov_b32 s8, exec_lo
	s_delay_alu instid0(VALU_DEP_2) | instskip(SKIP_2) | instid1(VALU_DEP_3)
	v_and_b32_e32 v46, 0x7f800000, v5
	v_and_b32_e32 v44, 0x7fffff, v5
	v_lshrrev_b32_e32 v2, 24, v5
	v_cmpx_ne_u64_e32 0x7f800000, v[46:47]
	s_xor_b32 s21, exec_lo, s8
	s_cbranch_execz .LBB0_480
; %bb.467:                              ;   in Loop: Header=BB0_380 Depth=3
	v_and_b32_e32 v46, 0x7fffffff, v5
	v_mov_b32_e32 v47, v65
	v_and_b32_e32 v2, 0x80, v2
                                        ; implicit-def: $vgpr79
	s_mov_b32 s8, exec_lo
	s_delay_alu instid0(VALU_DEP_2)
	v_cmpx_gt_u64_e32 0x47600001, v[46:47]
	s_xor_b32 s22, exec_lo, s8
	s_cbranch_execz .LBB0_477
; %bb.468:                              ;   in Loop: Header=BB0_380 Depth=3
	v_mov_b32_e32 v79, 0
	s_mov_b32 s23, exec_lo
	v_cmpx_ne_u32_e32 0, v5
	s_cbranch_execz .LBB0_476
; %bb.469:                              ;   in Loop: Header=BB0_380 Depth=3
	v_bfe_u32 v5, v5, 23, 8
	v_or_b32_e32 v79, 0x800000, v44
	s_delay_alu instid0(VALU_DEP_2) | instskip(SKIP_1) | instid1(VALU_DEP_2)
	v_sub_nc_u32_e32 v46, 0x71, v5
	v_cmp_gt_u32_e32 vcc_lo, 0x72, v5
	v_cndmask_b32_e32 v46, 0, v46, vcc_lo
	v_cmp_eq_u32_e32 vcc_lo, 0, v5
	v_cndmask_b32_e32 v44, v79, v44, vcc_lo
	s_delay_alu instid0(VALU_DEP_3) | instskip(NEXT) | instid1(VALU_DEP_1)
	v_cndmask_b32_e64 v78, v46, 0x70, vcc_lo
	v_dual_add_nc_u32 v46, 21, v78 :: v_dual_add_nc_u32 v88, 20, v78
	s_delay_alu instid0(VALU_DEP_1) | instskip(NEXT) | instid1(VALU_DEP_2)
	v_lshlrev_b64_e64 v[46:47], v46, -1
	v_lshlrev_b64_e64 v[88:89], v88, 1
	s_delay_alu instid0(VALU_DEP_2) | instskip(SKIP_1) | instid1(VALU_DEP_4)
	v_bfi_b32 v46, v46, 0, v44
	v_lshrrev_b64 v[44:45], v78, v[44:45]
	v_bfi_b32 v47, v47, 0, 0
	s_delay_alu instid0(VALU_DEP_1) | instskip(NEXT) | instid1(VALU_DEP_3)
	v_cmp_eq_u64_e64 s8, v[46:47], v[88:89]
	v_mov_b64_e32 v[46:47], v[44:45]
	s_and_saveexec_b32 s24, s8
; %bb.470:                              ;   in Loop: Header=BB0_380 Depth=3
	v_bfe_u32 v46, v44, 21, 1
	v_mov_b32_e32 v47, v65
	s_delay_alu instid0(VALU_DEP_1) | instskip(NEXT) | instid1(VALU_DEP_1)
	v_add_nc_u64_e32 v[46:47], v[44:45], v[46:47]
	v_add_nc_u64_e32 v[46:47], -1, v[46:47]
; %bb.471:                              ;   in Loop: Header=BB0_380 Depth=3
	s_or_b32 exec_lo, exec_lo, s24
	v_add_nc_u32_e32 v5, 0xffffff81, v5
	v_lshrrev_b32_e32 v45, 23, v44
	s_mov_b32 s8, exec_lo
	s_delay_alu instid0(VALU_DEP_2) | instskip(NEXT) | instid1(VALU_DEP_1)
	v_cndmask_b32_e64 v5, v5, 0xffffff82, vcc_lo
	v_add3_u32 v47, v78, v5, v45
	v_and_b32_e32 v5, 0x1fffff, v46
	s_delay_alu instid0(VALU_DEP_2) | instskip(NEXT) | instid1(VALU_DEP_2)
	v_dual_mov_b32 v45, v65 :: v_dual_add_nc_u32 v46, 14, v47
	v_add_nc_u32_e32 v44, v5, v44
                                        ; implicit-def: $vgpr5
	s_delay_alu instid0(VALU_DEP_2)
	v_cmpx_ne_u32_e32 0, v46
	s_xor_b32 s8, exec_lo, s8
; %bb.472:                              ;   in Loop: Header=BB0_380 Depth=3
	s_delay_alu instid0(VALU_DEP_2) | instskip(SKIP_1) | instid1(VALU_DEP_1)
	v_cmp_lt_u64_e32 vcc_lo, 0xffffff, v[44:45]
	v_add_nc_u32_e32 v5, 15, v47
	v_cndmask_b32_e32 v5, v46, v5, vcc_lo
	v_cndmask_b32_e64 v46, 0, 1, vcc_lo
	s_delay_alu instid0(VALU_DEP_1)
	v_lshrrev_b64 v[44:45], v46, v[44:45]
; %bb.473:                              ;   in Loop: Header=BB0_380 Depth=3
	s_and_not1_saveexec_b32 s8, s8
; %bb.474:                              ;   in Loop: Header=BB0_380 Depth=3
	s_delay_alu instid0(VALU_DEP_1)
	v_bfe_u32 v5, v44, 23, 1
; %bb.475:                              ;   in Loop: Header=BB0_380 Depth=3
	s_or_b32 exec_lo, exec_lo, s8
	s_delay_alu instid0(VALU_DEP_2) | instskip(NEXT) | instid1(VALU_DEP_2)
	v_lshrrev_b64 v[44:45], 21, v[44:45]
	v_cmp_gt_i32_e32 vcc_lo, 32, v5
	v_min_i32_e32 v46, 31, v5
	v_cmp_eq_u32_e64 s8, 0, v5
	s_delay_alu instid0(VALU_DEP_2) | instskip(SKIP_1) | instid1(VALU_DEP_2)
	v_dual_cndmask_b32 v44, 3, v44, vcc_lo :: v_dual_lshlrev_b32 v46, 2, v46
	v_cndmask_b32_e32 v45, 0, v45, vcc_lo
	v_and_b32_e32 v46, 0xfc, v46
	s_delay_alu instid0(VALU_DEP_2) | instskip(NEXT) | instid1(VALU_DEP_2)
	v_cmp_eq_u64_e32 vcc_lo, 0, v[44:45]
	v_and_or_b32 v5, v44, 3, v46
	s_and_b32 s8, s8, vcc_lo
	s_delay_alu instid0(VALU_DEP_1) | instid1(SALU_CYCLE_1)
	v_cndmask_b32_e64 v5, v5, 0, s8
	s_delay_alu instid0(VALU_DEP_1)
	v_or_b32_e32 v79, v5, v2
.LBB0_476:                              ;   in Loop: Header=BB0_380 Depth=3
	s_or_b32 exec_lo, exec_lo, s23
                                        ; implicit-def: $vgpr2
.LBB0_477:                              ;   in Loop: Header=BB0_380 Depth=3
	s_and_not1_saveexec_b32 s8, s22
; %bb.478:                              ;   in Loop: Header=BB0_380 Depth=3
	v_or_b32_e32 v79, 0x7b, v2
; %bb.479:                              ;   in Loop: Header=BB0_380 Depth=3
	s_or_b32 exec_lo, exec_lo, s8
                                        ; implicit-def: $vgpr5
                                        ; implicit-def: $vgpr44_vgpr45
                                        ; implicit-def: $vgpr2
.LBB0_480:                              ;   in Loop: Header=BB0_380 Depth=3
	s_and_not1_saveexec_b32 s8, s21
	s_cbranch_execz .LBB0_486
; %bb.481:                              ;   in Loop: Header=BB0_380 Depth=3
	s_mov_b32 s21, exec_lo
                                        ; implicit-def: $vgpr79
	v_cmpx_ne_u64_e32 0, v[44:45]
	s_xor_b32 s21, exec_lo, s21
; %bb.482:                              ;   in Loop: Header=BB0_380 Depth=3
	v_or_b32_e32 v79, 0x7f, v2
                                        ; implicit-def: $vgpr5
; %bb.483:                              ;   in Loop: Header=BB0_380 Depth=3
	s_and_not1_saveexec_b32 s21, s21
; %bb.484:                              ;   in Loop: Header=BB0_380 Depth=3
	v_cmp_lt_i32_e32 vcc_lo, -1, v5
	v_cndmask_b32_e32 v79, 0xfc, v59, vcc_lo
; %bb.485:                              ;   in Loop: Header=BB0_380 Depth=3
	s_or_b32 exec_lo, exec_lo, s21
.LBB0_486:                              ;   in Loop: Header=BB0_380 Depth=3
	s_delay_alu instid0(SALU_CYCLE_1)
	s_or_b32 exec_lo, exec_lo, s8
	v_mov_b32_e32 v44, 0
	s_mov_b32 s8, exec_lo
	v_cmpx_lt_u32_e32 0xffffff, v4
	s_cbranch_execz .LBB0_496
; %bb.487:                              ;   in Loop: Header=BB0_380 Depth=3
	v_lshrrev_b32_e32 v2, 24, v4
	v_bfrev_b32_e32 v44, 1
	s_mov_b32 s21, exec_lo
	s_delay_alu instid0(VALU_DEP_2)
	v_cmpx_ne_u32_e32 0x80, v2
	s_cbranch_execz .LBB0_495
; %bb.488:                              ;   in Loop: Header=BB0_380 Depth=3
	v_and_b32_e32 v5, 0x7c000000, v4
	v_bfe_u32 v45, v4, 24, 2
	s_mov_b32 s22, exec_lo
                                        ; implicit-def: $vgpr44
	s_delay_alu instid0(VALU_DEP_2)
	v_cmpx_ne_u32_e32 0x7c000000, v5
	s_xor_b32 s22, exec_lo, s22
	s_cbranch_execz .LBB0_492
; %bb.489:                              ;   in Loop: Header=BB0_380 Depth=3
	v_bfe_u32 v5, v4, 26, 5
	s_mov_b32 s23, exec_lo
	s_delay_alu instid0(VALU_DEP_1)
	v_cmpx_eq_u32_e32 0, v5
; %bb.490:                              ;   in Loop: Header=BB0_380 Depth=3
	v_clz_i32_u32_e32 v5, v45
	s_delay_alu instid0(VALU_DEP_1) | instskip(NEXT) | instid1(VALU_DEP_1)
	v_min_u32_e32 v5, 32, v5
	v_subrev_nc_u32_e32 v44, 29, v5
	s_delay_alu instid0(VALU_DEP_1) | instskip(NEXT) | instid1(VALU_DEP_1)
	v_lshlrev_b64_e32 v[44:45], v44, v[2:3]
	v_dual_sub_nc_u32 v5, 30, v5 :: v_dual_bitop2_b32 v45, 3, v44 bitop3:0x40
; %bb.491:                              ;   in Loop: Header=BB0_380 Depth=3
	s_or_b32 exec_lo, exec_lo, s23
	v_and_b32_e32 v2, 0x80000000, v4
	s_delay_alu instid0(VALU_DEP_1) | instskip(NEXT) | instid1(VALU_DEP_1)
	v_lshl_add_u32 v2, v5, 23, v2
                                        ; implicit-def: $vgpr4_vgpr5
	v_lshl_or_b32 v2, v45, 21, v2
                                        ; implicit-def: $vgpr45
	s_delay_alu instid0(VALU_DEP_1)
	v_add_nc_u32_e32 v44, 0x38000000, v2
.LBB0_492:                              ;   in Loop: Header=BB0_380 Depth=3
	s_and_not1_saveexec_b32 s22, s22
; %bb.493:                              ;   in Loop: Header=BB0_380 Depth=3
	v_cmp_lt_i32_e32 vcc_lo, -1, v4
	v_cndmask_b32_e32 v2, 0xff800000, v21, vcc_lo
	v_cmp_eq_u32_e32 vcc_lo, 0, v45
	s_delay_alu instid0(VALU_DEP_2)
	v_cndmask_b32_e32 v44, 0x7f800001, v2, vcc_lo
; %bb.494:                              ;   in Loop: Header=BB0_380 Depth=3
	s_or_b32 exec_lo, exec_lo, s22
.LBB0_495:                              ;   in Loop: Header=BB0_380 Depth=3
	s_delay_alu instid0(SALU_CYCLE_1)
	s_or_b32 exec_lo, exec_lo, s21
.LBB0_496:                              ;   in Loop: Header=BB0_380 Depth=3
	s_delay_alu instid0(SALU_CYCLE_1) | instskip(NEXT) | instid1(VALU_DEP_1)
	s_or_b32 exec_lo, exec_lo, s8
	v_dual_mul_f32 v44, v56, v44 :: v_dual_mov_b32 v47, v65
	v_mov_b32_e32 v5, v65
                                        ; implicit-def: $vgpr88
	s_mov_b32 s8, exec_lo
	s_delay_alu instid0(VALU_DEP_2) | instskip(SKIP_2) | instid1(VALU_DEP_3)
	v_and_b32_e32 v46, 0x7f800000, v44
	v_and_b32_e32 v4, 0x7fffff, v44
	v_lshrrev_b32_e32 v2, 24, v44
	v_cmpx_ne_u64_e32 0x7f800000, v[46:47]
	s_xor_b32 s21, exec_lo, s8
	s_cbranch_execz .LBB0_510
; %bb.497:                              ;   in Loop: Header=BB0_380 Depth=3
	v_and_b32_e32 v46, 0x7fffffff, v44
	v_mov_b32_e32 v47, v65
	v_and_b32_e32 v2, 0x80, v2
                                        ; implicit-def: $vgpr88
	s_mov_b32 s8, exec_lo
	s_delay_alu instid0(VALU_DEP_2)
	v_cmpx_gt_u64_e32 0x47600001, v[46:47]
	s_xor_b32 s22, exec_lo, s8
	s_cbranch_execz .LBB0_507
; %bb.498:                              ;   in Loop: Header=BB0_380 Depth=3
	v_mov_b32_e32 v88, 0
	s_mov_b32 s23, exec_lo
	v_cmpx_ne_u32_e32 0, v44
	s_cbranch_execz .LBB0_506
; %bb.499:                              ;   in Loop: Header=BB0_380 Depth=3
	v_bfe_u32 v46, v44, 23, 8
	v_or_b32_e32 v78, 0x800000, v4
	s_delay_alu instid0(VALU_DEP_2) | instskip(SKIP_1) | instid1(VALU_DEP_2)
	v_sub_nc_u32_e32 v44, 0x71, v46
	v_cmp_gt_u32_e32 vcc_lo, 0x72, v46
	v_cndmask_b32_e32 v44, 0, v44, vcc_lo
	v_cmp_eq_u32_e32 vcc_lo, 0, v46
	s_delay_alu instid0(VALU_DEP_2) | instskip(NEXT) | instid1(VALU_DEP_1)
	v_cndmask_b32_e64 v47, v44, 0x70, vcc_lo
	v_dual_cndmask_b32 v4, v78, v4, vcc_lo :: v_dual_add_nc_u32 v44, 21, v47
	v_add_nc_u32_e32 v88, 20, v47
	s_delay_alu instid0(VALU_DEP_2) | instskip(NEXT) | instid1(VALU_DEP_2)
	v_lshlrev_b64_e64 v[44:45], v44, -1
	v_lshlrev_b64_e64 v[88:89], v88, 1
	s_delay_alu instid0(VALU_DEP_2) | instskip(SKIP_1) | instid1(VALU_DEP_4)
	v_bfi_b32 v44, v44, 0, v4
	v_lshrrev_b64 v[4:5], v47, v[4:5]
	v_bfi_b32 v45, v45, 0, 0
	s_delay_alu instid0(VALU_DEP_1) | instskip(NEXT) | instid1(VALU_DEP_3)
	v_cmp_eq_u64_e64 s8, v[44:45], v[88:89]
	v_mov_b64_e32 v[44:45], v[4:5]
	s_and_saveexec_b32 s24, s8
; %bb.500:                              ;   in Loop: Header=BB0_380 Depth=3
	v_bfe_u32 v44, v4, 21, 1
	v_mov_b32_e32 v45, v65
	s_delay_alu instid0(VALU_DEP_1) | instskip(NEXT) | instid1(VALU_DEP_1)
	v_add_nc_u64_e32 v[44:45], v[4:5], v[44:45]
	v_add_nc_u64_e32 v[44:45], -1, v[44:45]
; %bb.501:                              ;   in Loop: Header=BB0_380 Depth=3
	s_or_b32 exec_lo, exec_lo, s24
	v_add_nc_u32_e32 v5, 0xffffff81, v46
	v_lshrrev_b32_e32 v45, 23, v4
	s_mov_b32 s8, exec_lo
	s_delay_alu instid0(VALU_DEP_2) | instskip(NEXT) | instid1(VALU_DEP_1)
	v_cndmask_b32_e64 v5, v5, 0xffffff82, vcc_lo
	v_add3_u32 v45, v47, v5, v45
	v_and_b32_e32 v5, 0x1fffff, v44
                                        ; implicit-def: $vgpr44
	s_delay_alu instid0(VALU_DEP_1) | instskip(SKIP_1) | instid1(VALU_DEP_2)
	v_dual_add_nc_u32 v46, 14, v45 :: v_dual_add_nc_u32 v4, v5, v4
	v_mov_b32_e32 v5, v65
	v_cmpx_ne_u32_e32 0, v46
	s_xor_b32 s8, exec_lo, s8
; %bb.502:                              ;   in Loop: Header=BB0_380 Depth=3
	s_delay_alu instid0(VALU_DEP_2) | instskip(SKIP_2) | instid1(VALU_DEP_2)
	v_cmp_lt_u64_e32 vcc_lo, 0xffffff, v[4:5]
	v_add_nc_u32_e32 v44, 15, v45
	v_cndmask_b32_e64 v45, 0, 1, vcc_lo
	v_cndmask_b32_e32 v44, v46, v44, vcc_lo
	s_delay_alu instid0(VALU_DEP_2)
	v_lshrrev_b64 v[4:5], v45, v[4:5]
; %bb.503:                              ;   in Loop: Header=BB0_380 Depth=3
	s_and_not1_saveexec_b32 s8, s8
; %bb.504:                              ;   in Loop: Header=BB0_380 Depth=3
	s_delay_alu instid0(VALU_DEP_1)
	v_bfe_u32 v44, v4, 23, 1
; %bb.505:                              ;   in Loop: Header=BB0_380 Depth=3
	s_or_b32 exec_lo, exec_lo, s8
	s_delay_alu instid0(VALU_DEP_2) | instskip(NEXT) | instid1(VALU_DEP_2)
	v_lshrrev_b64 v[4:5], 21, v[4:5]
	v_cmp_gt_i32_e32 vcc_lo, 32, v44
	v_min_i32_e32 v45, 31, v44
	v_cmp_eq_u32_e64 s8, 0, v44
	s_delay_alu instid0(VALU_DEP_4) | instskip(NEXT) | instid1(VALU_DEP_3)
	v_cndmask_b32_e32 v5, 0, v5, vcc_lo
	v_dual_cndmask_b32 v4, 3, v4 :: v_dual_lshlrev_b32 v45, 2, v45
	s_delay_alu instid0(VALU_DEP_1) | instskip(NEXT) | instid1(VALU_DEP_2)
	v_and_b32_e32 v45, 0xfc, v45
	v_cmp_eq_u64_e32 vcc_lo, 0, v[4:5]
	s_delay_alu instid0(VALU_DEP_2)
	v_and_or_b32 v4, v4, 3, v45
	s_and_b32 s8, s8, vcc_lo
	s_delay_alu instid0(VALU_DEP_1) | instid1(SALU_CYCLE_1)
	v_cndmask_b32_e64 v4, v4, 0, s8
	s_delay_alu instid0(VALU_DEP_1)
	v_or_b32_e32 v88, v4, v2
.LBB0_506:                              ;   in Loop: Header=BB0_380 Depth=3
	s_or_b32 exec_lo, exec_lo, s23
                                        ; implicit-def: $vgpr2
.LBB0_507:                              ;   in Loop: Header=BB0_380 Depth=3
	s_and_not1_saveexec_b32 s8, s22
; %bb.508:                              ;   in Loop: Header=BB0_380 Depth=3
	v_or_b32_e32 v88, 0x7b, v2
; %bb.509:                              ;   in Loop: Header=BB0_380 Depth=3
	s_or_b32 exec_lo, exec_lo, s8
                                        ; implicit-def: $vgpr44
                                        ; implicit-def: $vgpr4_vgpr5
                                        ; implicit-def: $vgpr2
.LBB0_510:                              ;   in Loop: Header=BB0_380 Depth=3
	s_and_not1_saveexec_b32 s8, s21
	s_cbranch_execz .LBB0_516
; %bb.511:                              ;   in Loop: Header=BB0_380 Depth=3
	s_mov_b32 s21, exec_lo
                                        ; implicit-def: $vgpr88
	v_cmpx_ne_u64_e32 0, v[4:5]
	s_xor_b32 s21, exec_lo, s21
; %bb.512:                              ;   in Loop: Header=BB0_380 Depth=3
	v_or_b32_e32 v88, 0x7f, v2
                                        ; implicit-def: $vgpr44
; %bb.513:                              ;   in Loop: Header=BB0_380 Depth=3
	s_and_not1_saveexec_b32 s21, s21
; %bb.514:                              ;   in Loop: Header=BB0_380 Depth=3
	v_cmp_lt_i32_e32 vcc_lo, -1, v44
	v_cndmask_b32_e32 v88, 0xfc, v59, vcc_lo
; %bb.515:                              ;   in Loop: Header=BB0_380 Depth=3
	s_or_b32 exec_lo, exec_lo, s21
.LBB0_516:                              ;   in Loop: Header=BB0_380 Depth=3
	s_delay_alu instid0(SALU_CYCLE_1) | instskip(SKIP_2) | instid1(VALU_DEP_2)
	s_or_b32 exec_lo, exec_lo, s8
	v_alignbit_b32 v4, v74, v76, v77
	v_mov_b32_e32 v5, v65
	v_and_b32_e32 v2, 0xff, v4
	s_delay_alu instid0(VALU_DEP_1)
	v_cmp_ne_u16_e32 vcc_lo, 0, v2
	v_mov_b32_e32 v2, 0
	s_and_saveexec_b32 s8, vcc_lo
	s_cbranch_execz .LBB0_526
; %bb.517:                              ;   in Loop: Header=BB0_380 Depth=3
	v_bfe_i32 v45, v4, 0, 8
	v_bfrev_b32_e32 v2, 1
	s_mov_b32 s21, exec_lo
	s_delay_alu instid0(VALU_DEP_2)
	v_cmpx_ne_u16_e32 0xff80, v45
	s_cbranch_execz .LBB0_525
; %bb.518:                              ;   in Loop: Header=BB0_380 Depth=3
	v_and_b32_e32 v2, 0x7c, v4
	v_and_b32_e32 v44, 3, v4
	s_delay_alu instid0(VALU_DEP_2) | instskip(SKIP_1) | instid1(SALU_CYCLE_1)
	v_cmp_ne_u32_e32 vcc_lo, 0x7c, v2
                                        ; implicit-def: $vgpr2
	s_and_saveexec_b32 s22, vcc_lo
	s_xor_b32 s22, exec_lo, s22
	s_cbranch_execz .LBB0_522
; %bb.519:                              ;   in Loop: Header=BB0_380 Depth=3
	v_bfe_u32 v2, v4, 2, 5
	s_mov_b32 s23, exec_lo
	s_delay_alu instid0(VALU_DEP_1)
	v_cmpx_eq_u32_e32 0, v2
; %bb.520:                              ;   in Loop: Header=BB0_380 Depth=3
	v_clz_i32_u32_e32 v2, v44
	s_delay_alu instid0(VALU_DEP_1) | instskip(NEXT) | instid1(VALU_DEP_1)
	v_min_u32_e32 v2, 32, v2
	v_subrev_nc_u32_e32 v44, 29, v2
	s_delay_alu instid0(VALU_DEP_1) | instskip(NEXT) | instid1(VALU_DEP_1)
	v_lshlrev_b64_e32 v[44:45], v44, v[4:5]
	v_dual_sub_nc_u32 v2, 30, v2 :: v_dual_bitop2_b32 v44, 3, v44 bitop3:0x40
; %bb.521:                              ;   in Loop: Header=BB0_380 Depth=3
	s_or_b32 exec_lo, exec_lo, s23
	v_lshlrev_b32_e32 v5, 24, v4
                                        ; implicit-def: $vgpr45
	s_delay_alu instid0(VALU_DEP_1) | instskip(NEXT) | instid1(VALU_DEP_1)
	v_and_b32_e32 v5, 0x80000000, v5
	v_lshl_add_u32 v2, v2, 23, v5
	s_delay_alu instid0(VALU_DEP_1) | instskip(NEXT) | instid1(VALU_DEP_1)
	v_lshl_or_b32 v2, v44, 21, v2
                                        ; implicit-def: $vgpr44
	v_add_nc_u32_e32 v2, 0x38000000, v2
.LBB0_522:                              ;   in Loop: Header=BB0_380 Depth=3
	s_and_not1_saveexec_b32 s22, s22
; %bb.523:                              ;   in Loop: Header=BB0_380 Depth=3
	v_cmp_lt_i16_e32 vcc_lo, -1, v45
	v_cndmask_b32_e32 v2, 0xff800000, v21, vcc_lo
	v_cmp_eq_u32_e32 vcc_lo, 0, v44
	s_delay_alu instid0(VALU_DEP_2)
	v_cndmask_b32_e32 v2, 0x7f800001, v2, vcc_lo
; %bb.524:                              ;   in Loop: Header=BB0_380 Depth=3
	s_or_b32 exec_lo, exec_lo, s22
.LBB0_525:                              ;   in Loop: Header=BB0_380 Depth=3
	s_delay_alu instid0(SALU_CYCLE_1)
	s_or_b32 exec_lo, exec_lo, s21
.LBB0_526:                              ;   in Loop: Header=BB0_380 Depth=3
	s_delay_alu instid0(SALU_CYCLE_1) | instskip(NEXT) | instid1(VALU_DEP_1)
	s_or_b32 exec_lo, exec_lo, s8
	v_dual_mul_f32 v5, v56, v2 :: v_dual_mov_b32 v47, v65
	v_mov_b32_e32 v45, v65
                                        ; implicit-def: $vgpr74
	s_mov_b32 s8, exec_lo
	s_delay_alu instid0(VALU_DEP_2) | instskip(SKIP_2) | instid1(VALU_DEP_3)
	v_and_b32_e32 v46, 0x7f800000, v5
	v_and_b32_e32 v44, 0x7fffff, v5
	v_lshrrev_b32_e32 v2, 24, v5
	v_cmpx_ne_u64_e32 0x7f800000, v[46:47]
	s_xor_b32 s21, exec_lo, s8
	s_cbranch_execz .LBB0_540
; %bb.527:                              ;   in Loop: Header=BB0_380 Depth=3
	v_and_b32_e32 v46, 0x7fffffff, v5
	v_mov_b32_e32 v47, v65
	v_and_b32_e32 v2, 0x80, v2
                                        ; implicit-def: $vgpr74
	s_mov_b32 s8, exec_lo
	s_delay_alu instid0(VALU_DEP_2)
	v_cmpx_gt_u64_e32 0x47600001, v[46:47]
	s_xor_b32 s22, exec_lo, s8
	s_cbranch_execz .LBB0_537
; %bb.528:                              ;   in Loop: Header=BB0_380 Depth=3
	v_mov_b32_e32 v74, 0
	s_mov_b32 s23, exec_lo
	v_cmpx_ne_u32_e32 0, v5
	s_cbranch_execz .LBB0_536
; %bb.529:                              ;   in Loop: Header=BB0_380 Depth=3
	v_bfe_u32 v5, v5, 23, 8
	v_or_b32_e32 v76, 0x800000, v44
	s_delay_alu instid0(VALU_DEP_2) | instskip(SKIP_1) | instid1(VALU_DEP_2)
	v_sub_nc_u32_e32 v46, 0x71, v5
	v_cmp_gt_u32_e32 vcc_lo, 0x72, v5
	v_cndmask_b32_e32 v46, 0, v46, vcc_lo
	v_cmp_eq_u32_e32 vcc_lo, 0, v5
	v_cndmask_b32_e32 v44, v76, v44, vcc_lo
	s_delay_alu instid0(VALU_DEP_3) | instskip(NEXT) | instid1(VALU_DEP_1)
	v_cndmask_b32_e64 v74, v46, 0x70, vcc_lo
	v_dual_add_nc_u32 v46, 21, v74 :: v_dual_add_nc_u32 v77, 20, v74
	s_delay_alu instid0(VALU_DEP_1) | instskip(NEXT) | instid1(VALU_DEP_2)
	v_lshlrev_b64_e64 v[46:47], v46, -1
	v_lshlrev_b64_e64 v[76:77], v77, 1
	s_delay_alu instid0(VALU_DEP_2) | instskip(SKIP_1) | instid1(VALU_DEP_4)
	v_bfi_b32 v46, v46, 0, v44
	v_lshrrev_b64 v[44:45], v74, v[44:45]
	v_bfi_b32 v47, v47, 0, 0
	s_delay_alu instid0(VALU_DEP_1) | instskip(NEXT) | instid1(VALU_DEP_3)
	v_cmp_eq_u64_e64 s8, v[46:47], v[76:77]
	v_mov_b64_e32 v[46:47], v[44:45]
	s_and_saveexec_b32 s24, s8
; %bb.530:                              ;   in Loop: Header=BB0_380 Depth=3
	v_bfe_u32 v46, v44, 21, 1
	v_mov_b32_e32 v47, v65
	s_delay_alu instid0(VALU_DEP_1) | instskip(NEXT) | instid1(VALU_DEP_1)
	v_add_nc_u64_e32 v[46:47], v[44:45], v[46:47]
	v_add_nc_u64_e32 v[46:47], -1, v[46:47]
; %bb.531:                              ;   in Loop: Header=BB0_380 Depth=3
	s_or_b32 exec_lo, exec_lo, s24
	v_add_nc_u32_e32 v5, 0xffffff81, v5
	v_lshrrev_b32_e32 v45, 23, v44
	s_mov_b32 s8, exec_lo
	s_delay_alu instid0(VALU_DEP_2) | instskip(NEXT) | instid1(VALU_DEP_1)
	v_cndmask_b32_e64 v5, v5, 0xffffff82, vcc_lo
	v_add3_u32 v47, v74, v5, v45
	v_and_b32_e32 v5, 0x1fffff, v46
	s_delay_alu instid0(VALU_DEP_2) | instskip(NEXT) | instid1(VALU_DEP_2)
	v_dual_mov_b32 v45, v65 :: v_dual_add_nc_u32 v46, 14, v47
	v_add_nc_u32_e32 v44, v5, v44
                                        ; implicit-def: $vgpr5
	s_delay_alu instid0(VALU_DEP_2)
	v_cmpx_ne_u32_e32 0, v46
	s_xor_b32 s8, exec_lo, s8
; %bb.532:                              ;   in Loop: Header=BB0_380 Depth=3
	s_delay_alu instid0(VALU_DEP_2) | instskip(SKIP_1) | instid1(VALU_DEP_1)
	v_cmp_lt_u64_e32 vcc_lo, 0xffffff, v[44:45]
	v_add_nc_u32_e32 v5, 15, v47
	v_cndmask_b32_e32 v5, v46, v5, vcc_lo
	v_cndmask_b32_e64 v46, 0, 1, vcc_lo
	s_delay_alu instid0(VALU_DEP_1)
	v_lshrrev_b64 v[44:45], v46, v[44:45]
; %bb.533:                              ;   in Loop: Header=BB0_380 Depth=3
	s_and_not1_saveexec_b32 s8, s8
; %bb.534:                              ;   in Loop: Header=BB0_380 Depth=3
	s_delay_alu instid0(VALU_DEP_1)
	v_bfe_u32 v5, v44, 23, 1
; %bb.535:                              ;   in Loop: Header=BB0_380 Depth=3
	s_or_b32 exec_lo, exec_lo, s8
	s_delay_alu instid0(VALU_DEP_2) | instskip(NEXT) | instid1(VALU_DEP_2)
	v_lshrrev_b64 v[44:45], 21, v[44:45]
	v_cmp_gt_i32_e32 vcc_lo, 32, v5
	v_min_i32_e32 v46, 31, v5
	v_cmp_eq_u32_e64 s8, 0, v5
	s_delay_alu instid0(VALU_DEP_2) | instskip(SKIP_1) | instid1(VALU_DEP_2)
	v_dual_cndmask_b32 v44, 3, v44, vcc_lo :: v_dual_lshlrev_b32 v46, 2, v46
	v_cndmask_b32_e32 v45, 0, v45, vcc_lo
	v_and_b32_e32 v46, 0xfc, v46
	s_delay_alu instid0(VALU_DEP_2) | instskip(NEXT) | instid1(VALU_DEP_2)
	v_cmp_eq_u64_e32 vcc_lo, 0, v[44:45]
	v_and_or_b32 v5, v44, 3, v46
	s_and_b32 s8, s8, vcc_lo
	s_delay_alu instid0(VALU_DEP_1) | instid1(SALU_CYCLE_1)
	v_cndmask_b32_e64 v5, v5, 0, s8
	s_delay_alu instid0(VALU_DEP_1)
	v_or_b32_e32 v74, v5, v2
.LBB0_536:                              ;   in Loop: Header=BB0_380 Depth=3
	s_or_b32 exec_lo, exec_lo, s23
                                        ; implicit-def: $vgpr2
.LBB0_537:                              ;   in Loop: Header=BB0_380 Depth=3
	s_and_not1_saveexec_b32 s8, s22
; %bb.538:                              ;   in Loop: Header=BB0_380 Depth=3
	v_or_b32_e32 v74, 0x7b, v2
; %bb.539:                              ;   in Loop: Header=BB0_380 Depth=3
	s_or_b32 exec_lo, exec_lo, s8
                                        ; implicit-def: $vgpr5
                                        ; implicit-def: $vgpr44_vgpr45
                                        ; implicit-def: $vgpr2
.LBB0_540:                              ;   in Loop: Header=BB0_380 Depth=3
	s_and_not1_saveexec_b32 s8, s21
	s_cbranch_execz .LBB0_546
; %bb.541:                              ;   in Loop: Header=BB0_380 Depth=3
	s_mov_b32 s21, exec_lo
                                        ; implicit-def: $vgpr74
	v_cmpx_ne_u64_e32 0, v[44:45]
	s_xor_b32 s21, exec_lo, s21
; %bb.542:                              ;   in Loop: Header=BB0_380 Depth=3
	v_or_b32_e32 v74, 0x7f, v2
                                        ; implicit-def: $vgpr5
; %bb.543:                              ;   in Loop: Header=BB0_380 Depth=3
	s_and_not1_saveexec_b32 s21, s21
; %bb.544:                              ;   in Loop: Header=BB0_380 Depth=3
	v_cmp_lt_i32_e32 vcc_lo, -1, v5
	v_cndmask_b32_e32 v74, 0xfc, v59, vcc_lo
; %bb.545:                              ;   in Loop: Header=BB0_380 Depth=3
	s_or_b32 exec_lo, exec_lo, s21
.LBB0_546:                              ;   in Loop: Header=BB0_380 Depth=3
	s_delay_alu instid0(SALU_CYCLE_1) | instskip(SKIP_3) | instid1(VALU_DEP_2)
	s_or_b32 exec_lo, exec_lo, s8
	v_lshrrev_b16 v44, 8, v4
	v_mov_b32_e32 v5, 0
	s_mov_b32 s8, exec_lo
	v_cmpx_ne_u16_e32 0, v44
	s_cbranch_execz .LBB0_556
; %bb.547:                              ;   in Loop: Header=BB0_380 Depth=3
	v_bfrev_b32_e32 v5, 1
	s_mov_b32 s21, exec_lo
	v_cmpx_ne_u16_e32 0x80, v44
	s_cbranch_execz .LBB0_555
; %bb.548:                              ;   in Loop: Header=BB0_380 Depth=3
	v_and_b32_e32 v45, 0xffff, v44
	s_delay_alu instid0(VALU_DEP_1) | instskip(SKIP_1) | instid1(VALU_DEP_2)
	v_and_b32_e32 v5, 0x7c, v45
	v_and_b32_e32 v2, 3, v45
	v_cmp_ne_u32_e32 vcc_lo, 0x7c, v5
                                        ; implicit-def: $vgpr5
	s_and_saveexec_b32 s22, vcc_lo
	s_delay_alu instid0(SALU_CYCLE_1)
	s_xor_b32 s22, exec_lo, s22
	s_cbranch_execz .LBB0_552
; %bb.549:                              ;   in Loop: Header=BB0_380 Depth=3
	v_bfe_u32 v5, v45, 2, 5
	s_mov_b32 s23, exec_lo
	s_delay_alu instid0(VALU_DEP_1)
	v_cmpx_eq_u32_e32 0, v5
; %bb.550:                              ;   in Loop: Header=BB0_380 Depth=3
	v_clz_i32_u32_e32 v2, v2
	s_delay_alu instid0(VALU_DEP_1) | instskip(SKIP_1) | instid1(VALU_DEP_2)
	v_min_u32_e32 v2, 32, v2
	v_mov_b32_e32 v45, v65
	v_subrev_nc_u32_e32 v5, 29, v2
	s_delay_alu instid0(VALU_DEP_1) | instskip(NEXT) | instid1(VALU_DEP_1)
	v_lshlrev_b64_e32 v[44:45], v5, v[44:45]
	v_dual_sub_nc_u32 v5, 30, v2 :: v_dual_bitop2_b32 v2, 3, v44 bitop3:0x40
; %bb.551:                              ;   in Loop: Header=BB0_380 Depth=3
	s_or_b32 exec_lo, exec_lo, s23
	v_lshlrev_b32_e32 v44, 16, v4
	s_delay_alu instid0(VALU_DEP_1) | instskip(NEXT) | instid1(VALU_DEP_1)
	v_and_b32_e32 v44, 0x80000000, v44
	v_lshl_add_u32 v5, v5, 23, v44
	s_delay_alu instid0(VALU_DEP_1) | instskip(NEXT) | instid1(VALU_DEP_1)
	v_lshl_or_b32 v2, v2, 21, v5
	v_add_nc_u32_e32 v5, 0x38000000, v2
                                        ; implicit-def: $vgpr2
.LBB0_552:                              ;   in Loop: Header=BB0_380 Depth=3
	s_and_not1_saveexec_b32 s22, s22
; %bb.553:                              ;   in Loop: Header=BB0_380 Depth=3
	v_cmp_lt_i16_e32 vcc_lo, -1, v4
	v_cndmask_b32_e32 v5, 0xff800000, v21, vcc_lo
	v_cmp_eq_u32_e32 vcc_lo, 0, v2
	s_delay_alu instid0(VALU_DEP_2)
	v_cndmask_b32_e32 v5, 0x7f800001, v5, vcc_lo
; %bb.554:                              ;   in Loop: Header=BB0_380 Depth=3
	s_or_b32 exec_lo, exec_lo, s22
.LBB0_555:                              ;   in Loop: Header=BB0_380 Depth=3
	s_delay_alu instid0(SALU_CYCLE_1)
	s_or_b32 exec_lo, exec_lo, s21
.LBB0_556:                              ;   in Loop: Header=BB0_380 Depth=3
	s_delay_alu instid0(SALU_CYCLE_1) | instskip(NEXT) | instid1(VALU_DEP_1)
	s_or_b32 exec_lo, exec_lo, s8
	v_dual_mul_f32 v5, v56, v5 :: v_dual_mov_b32 v47, v65
	v_mov_b32_e32 v45, v65
                                        ; implicit-def: $vgpr76
	s_mov_b32 s8, exec_lo
	s_delay_alu instid0(VALU_DEP_2) | instskip(SKIP_2) | instid1(VALU_DEP_3)
	v_and_b32_e32 v46, 0x7f800000, v5
	v_and_b32_e32 v44, 0x7fffff, v5
	v_lshrrev_b32_e32 v2, 24, v5
	v_cmpx_ne_u64_e32 0x7f800000, v[46:47]
	s_xor_b32 s21, exec_lo, s8
	s_cbranch_execz .LBB0_570
; %bb.557:                              ;   in Loop: Header=BB0_380 Depth=3
	v_and_b32_e32 v46, 0x7fffffff, v5
	v_mov_b32_e32 v47, v65
	v_and_b32_e32 v2, 0x80, v2
                                        ; implicit-def: $vgpr76
	s_mov_b32 s8, exec_lo
	s_delay_alu instid0(VALU_DEP_2)
	v_cmpx_gt_u64_e32 0x47600001, v[46:47]
	s_xor_b32 s22, exec_lo, s8
	s_cbranch_execz .LBB0_567
; %bb.558:                              ;   in Loop: Header=BB0_380 Depth=3
	v_mov_b32_e32 v76, 0
	s_mov_b32 s23, exec_lo
	v_cmpx_ne_u32_e32 0, v5
	s_cbranch_execz .LBB0_566
; %bb.559:                              ;   in Loop: Header=BB0_380 Depth=3
	v_bfe_u32 v5, v5, 23, 8
	v_or_b32_e32 v77, 0x800000, v44
	s_delay_alu instid0(VALU_DEP_2) | instskip(SKIP_1) | instid1(VALU_DEP_2)
	v_sub_nc_u32_e32 v46, 0x71, v5
	v_cmp_gt_u32_e32 vcc_lo, 0x72, v5
	v_cndmask_b32_e32 v46, 0, v46, vcc_lo
	v_cmp_eq_u32_e32 vcc_lo, 0, v5
	s_delay_alu instid0(VALU_DEP_2) | instskip(SKIP_1) | instid1(VALU_DEP_2)
	v_cndmask_b32_e64 v76, v46, 0x70, vcc_lo
	v_cndmask_b32_e32 v44, v77, v44, vcc_lo
	v_dual_add_nc_u32 v46, 21, v76 :: v_dual_add_nc_u32 v78, 20, v76
	s_delay_alu instid0(VALU_DEP_1) | instskip(NEXT) | instid1(VALU_DEP_2)
	v_lshlrev_b64_e64 v[46:47], v46, -1
	v_lshlrev_b64_e64 v[90:91], v78, 1
	s_delay_alu instid0(VALU_DEP_2) | instskip(SKIP_1) | instid1(VALU_DEP_4)
	v_bfi_b32 v46, v46, 0, v44
	v_lshrrev_b64 v[44:45], v76, v[44:45]
	v_bfi_b32 v47, v47, 0, 0
	s_delay_alu instid0(VALU_DEP_1) | instskip(NEXT) | instid1(VALU_DEP_3)
	v_cmp_eq_u64_e64 s8, v[46:47], v[90:91]
	v_mov_b64_e32 v[46:47], v[44:45]
	s_and_saveexec_b32 s24, s8
; %bb.560:                              ;   in Loop: Header=BB0_380 Depth=3
	v_bfe_u32 v46, v44, 21, 1
	v_mov_b32_e32 v47, v65
	s_delay_alu instid0(VALU_DEP_1) | instskip(NEXT) | instid1(VALU_DEP_1)
	v_add_nc_u64_e32 v[46:47], v[44:45], v[46:47]
	v_add_nc_u64_e32 v[46:47], -1, v[46:47]
; %bb.561:                              ;   in Loop: Header=BB0_380 Depth=3
	s_or_b32 exec_lo, exec_lo, s24
	v_add_nc_u32_e32 v5, 0xffffff81, v5
	v_lshrrev_b32_e32 v45, 23, v44
	s_mov_b32 s8, exec_lo
	s_delay_alu instid0(VALU_DEP_2) | instskip(NEXT) | instid1(VALU_DEP_1)
	v_cndmask_b32_e64 v5, v5, 0xffffff82, vcc_lo
	v_add3_u32 v47, v76, v5, v45
	v_and_b32_e32 v5, 0x1fffff, v46
	s_delay_alu instid0(VALU_DEP_2) | instskip(NEXT) | instid1(VALU_DEP_2)
	v_dual_mov_b32 v45, v65 :: v_dual_add_nc_u32 v46, 14, v47
	v_add_nc_u32_e32 v44, v5, v44
                                        ; implicit-def: $vgpr5
	s_delay_alu instid0(VALU_DEP_2)
	v_cmpx_ne_u32_e32 0, v46
	s_xor_b32 s8, exec_lo, s8
; %bb.562:                              ;   in Loop: Header=BB0_380 Depth=3
	s_delay_alu instid0(VALU_DEP_2) | instskip(SKIP_1) | instid1(VALU_DEP_1)
	v_cmp_lt_u64_e32 vcc_lo, 0xffffff, v[44:45]
	v_add_nc_u32_e32 v5, 15, v47
	v_cndmask_b32_e32 v5, v46, v5, vcc_lo
	v_cndmask_b32_e64 v46, 0, 1, vcc_lo
	s_delay_alu instid0(VALU_DEP_1)
	v_lshrrev_b64 v[44:45], v46, v[44:45]
; %bb.563:                              ;   in Loop: Header=BB0_380 Depth=3
	s_and_not1_saveexec_b32 s8, s8
; %bb.564:                              ;   in Loop: Header=BB0_380 Depth=3
	s_delay_alu instid0(VALU_DEP_1)
	v_bfe_u32 v5, v44, 23, 1
; %bb.565:                              ;   in Loop: Header=BB0_380 Depth=3
	s_or_b32 exec_lo, exec_lo, s8
	s_delay_alu instid0(VALU_DEP_2) | instskip(NEXT) | instid1(VALU_DEP_2)
	v_lshrrev_b64 v[44:45], 21, v[44:45]
	v_cmp_gt_i32_e32 vcc_lo, 32, v5
	v_min_i32_e32 v46, 31, v5
	v_cmp_eq_u32_e64 s8, 0, v5
	s_delay_alu instid0(VALU_DEP_2) | instskip(SKIP_1) | instid1(VALU_DEP_2)
	v_dual_cndmask_b32 v44, 3, v44, vcc_lo :: v_dual_lshlrev_b32 v46, 2, v46
	v_cndmask_b32_e32 v45, 0, v45, vcc_lo
	v_and_b32_e32 v46, 0xfc, v46
	s_delay_alu instid0(VALU_DEP_2) | instskip(NEXT) | instid1(VALU_DEP_2)
	v_cmp_eq_u64_e32 vcc_lo, 0, v[44:45]
	v_and_or_b32 v5, v44, 3, v46
	s_and_b32 s8, s8, vcc_lo
	s_delay_alu instid0(VALU_DEP_1) | instid1(SALU_CYCLE_1)
	v_cndmask_b32_e64 v5, v5, 0, s8
	s_delay_alu instid0(VALU_DEP_1)
	v_or_b32_e32 v76, v5, v2
.LBB0_566:                              ;   in Loop: Header=BB0_380 Depth=3
	s_or_b32 exec_lo, exec_lo, s23
                                        ; implicit-def: $vgpr2
.LBB0_567:                              ;   in Loop: Header=BB0_380 Depth=3
	s_and_not1_saveexec_b32 s8, s22
; %bb.568:                              ;   in Loop: Header=BB0_380 Depth=3
	v_or_b32_e32 v76, 0x7b, v2
; %bb.569:                              ;   in Loop: Header=BB0_380 Depth=3
	s_or_b32 exec_lo, exec_lo, s8
                                        ; implicit-def: $vgpr5
                                        ; implicit-def: $vgpr44_vgpr45
                                        ; implicit-def: $vgpr2
.LBB0_570:                              ;   in Loop: Header=BB0_380 Depth=3
	s_and_not1_saveexec_b32 s8, s21
	s_cbranch_execz .LBB0_576
; %bb.571:                              ;   in Loop: Header=BB0_380 Depth=3
	s_mov_b32 s21, exec_lo
                                        ; implicit-def: $vgpr76
	v_cmpx_ne_u64_e32 0, v[44:45]
	s_xor_b32 s21, exec_lo, s21
; %bb.572:                              ;   in Loop: Header=BB0_380 Depth=3
	v_or_b32_e32 v76, 0x7f, v2
                                        ; implicit-def: $vgpr5
; %bb.573:                              ;   in Loop: Header=BB0_380 Depth=3
	s_and_not1_saveexec_b32 s21, s21
; %bb.574:                              ;   in Loop: Header=BB0_380 Depth=3
	v_cmp_lt_i32_e32 vcc_lo, -1, v5
	v_cndmask_b32_e32 v76, 0xfc, v59, vcc_lo
; %bb.575:                              ;   in Loop: Header=BB0_380 Depth=3
	s_or_b32 exec_lo, exec_lo, s21
.LBB0_576:                              ;   in Loop: Header=BB0_380 Depth=3
	s_delay_alu instid0(SALU_CYCLE_1) | instskip(SKIP_2) | instid1(VALU_DEP_1)
	s_or_b32 exec_lo, exec_lo, s8
	v_dual_mov_b32 v5, 0 :: v_dual_lshrrev_b32 v2, 16, v4
	s_mov_b32 s8, exec_lo
	v_and_b32_e32 v44, 0xff, v2
	s_delay_alu instid0(VALU_DEP_1)
	v_cmpx_ne_u16_e32 0, v44
	s_cbranch_execz .LBB0_586
; %bb.577:                              ;   in Loop: Header=BB0_380 Depth=3
	v_bfrev_b32_e32 v5, 1
	s_mov_b32 s21, exec_lo
	v_cmpx_ne_u16_e32 0x80, v44
	s_cbranch_execz .LBB0_585
; %bb.578:                              ;   in Loop: Header=BB0_380 Depth=3
	v_and_b32_e32 v5, 0x7c0000, v4
	v_bfe_u32 v44, v4, 16, 2
	s_delay_alu instid0(VALU_DEP_2) | instskip(SKIP_1) | instid1(SALU_CYCLE_1)
	v_cmp_ne_u32_e32 vcc_lo, 0x7c0000, v5
                                        ; implicit-def: $vgpr5
	s_and_saveexec_b32 s22, vcc_lo
	s_xor_b32 s22, exec_lo, s22
	s_cbranch_execz .LBB0_582
; %bb.579:                              ;   in Loop: Header=BB0_380 Depth=3
	v_bfe_u32 v5, v4, 18, 5
	s_mov_b32 s23, exec_lo
	s_delay_alu instid0(VALU_DEP_1)
	v_cmpx_eq_u32_e32 0, v5
; %bb.580:                              ;   in Loop: Header=BB0_380 Depth=3
	v_clz_i32_u32_e32 v5, v44
	s_delay_alu instid0(VALU_DEP_1) | instskip(NEXT) | instid1(VALU_DEP_1)
	v_min_u32_e32 v5, 32, v5
	v_subrev_nc_u32_e32 v44, 29, v5
	s_delay_alu instid0(VALU_DEP_1) | instskip(NEXT) | instid1(VALU_DEP_1)
	v_lshlrev_b64_e32 v[44:45], v44, v[2:3]
	v_dual_sub_nc_u32 v5, 30, v5 :: v_dual_bitop2_b32 v44, 3, v44 bitop3:0x40
; %bb.581:                              ;   in Loop: Header=BB0_380 Depth=3
	s_or_b32 exec_lo, exec_lo, s23
	v_lshlrev_b32_e32 v2, 24, v2
	s_delay_alu instid0(VALU_DEP_1) | instskip(NEXT) | instid1(VALU_DEP_1)
	v_and_b32_e32 v2, 0x80000000, v2
	v_lshl_add_u32 v2, v5, 23, v2
	s_delay_alu instid0(VALU_DEP_1) | instskip(NEXT) | instid1(VALU_DEP_1)
	v_lshl_or_b32 v2, v44, 21, v2
                                        ; implicit-def: $vgpr44
	v_add_nc_u32_e32 v5, 0x38000000, v2
                                        ; implicit-def: $vgpr2
.LBB0_582:                              ;   in Loop: Header=BB0_380 Depth=3
	s_and_not1_saveexec_b32 s22, s22
; %bb.583:                              ;   in Loop: Header=BB0_380 Depth=3
	v_bfe_i32 v2, v2, 0, 8
	s_delay_alu instid0(VALU_DEP_1) | instskip(SKIP_2) | instid1(VALU_DEP_2)
	v_cmp_lt_i16_e32 vcc_lo, -1, v2
	v_cndmask_b32_e32 v2, 0xff800000, v21, vcc_lo
	v_cmp_eq_u32_e32 vcc_lo, 0, v44
	v_cndmask_b32_e32 v5, 0x7f800001, v2, vcc_lo
; %bb.584:                              ;   in Loop: Header=BB0_380 Depth=3
	s_or_b32 exec_lo, exec_lo, s22
.LBB0_585:                              ;   in Loop: Header=BB0_380 Depth=3
	s_delay_alu instid0(SALU_CYCLE_1)
	s_or_b32 exec_lo, exec_lo, s21
.LBB0_586:                              ;   in Loop: Header=BB0_380 Depth=3
	s_delay_alu instid0(SALU_CYCLE_1) | instskip(NEXT) | instid1(VALU_DEP_1)
	s_or_b32 exec_lo, exec_lo, s8
	v_dual_mul_f32 v5, v56, v5 :: v_dual_mov_b32 v47, v65
	v_mov_b32_e32 v45, v65
                                        ; implicit-def: $vgpr77
	s_mov_b32 s8, exec_lo
	s_delay_alu instid0(VALU_DEP_2) | instskip(SKIP_2) | instid1(VALU_DEP_3)
	v_and_b32_e32 v46, 0x7f800000, v5
	v_and_b32_e32 v44, 0x7fffff, v5
	v_lshrrev_b32_e32 v2, 24, v5
	v_cmpx_ne_u64_e32 0x7f800000, v[46:47]
	s_xor_b32 s21, exec_lo, s8
	s_cbranch_execz .LBB0_600
; %bb.587:                              ;   in Loop: Header=BB0_380 Depth=3
	v_and_b32_e32 v46, 0x7fffffff, v5
	v_mov_b32_e32 v47, v65
	v_and_b32_e32 v2, 0x80, v2
                                        ; implicit-def: $vgpr77
	s_mov_b32 s8, exec_lo
	s_delay_alu instid0(VALU_DEP_2)
	v_cmpx_gt_u64_e32 0x47600001, v[46:47]
	s_xor_b32 s22, exec_lo, s8
	s_cbranch_execz .LBB0_597
; %bb.588:                              ;   in Loop: Header=BB0_380 Depth=3
	v_mov_b32_e32 v77, 0
	s_mov_b32 s23, exec_lo
	v_cmpx_ne_u32_e32 0, v5
	s_cbranch_execz .LBB0_596
; %bb.589:                              ;   in Loop: Header=BB0_380 Depth=3
	v_bfe_u32 v5, v5, 23, 8
	v_or_b32_e32 v78, 0x800000, v44
	s_delay_alu instid0(VALU_DEP_2) | instskip(SKIP_1) | instid1(VALU_DEP_2)
	v_sub_nc_u32_e32 v46, 0x71, v5
	v_cmp_gt_u32_e32 vcc_lo, 0x72, v5
	v_cndmask_b32_e32 v46, 0, v46, vcc_lo
	v_cmp_eq_u32_e32 vcc_lo, 0, v5
	s_delay_alu instid0(VALU_DEP_2) | instskip(NEXT) | instid1(VALU_DEP_1)
	v_cndmask_b32_e64 v77, v46, 0x70, vcc_lo
	v_dual_cndmask_b32 v44, v78, v44, vcc_lo :: v_dual_add_nc_u32 v46, 21, v77
	v_add_nc_u32_e32 v89, 20, v77
	s_delay_alu instid0(VALU_DEP_2) | instskip(NEXT) | instid1(VALU_DEP_2)
	v_lshlrev_b64_e64 v[46:47], v46, -1
	v_lshlrev_b64_e64 v[90:91], v89, 1
	s_delay_alu instid0(VALU_DEP_2) | instskip(SKIP_1) | instid1(VALU_DEP_4)
	v_bfi_b32 v46, v46, 0, v44
	v_lshrrev_b64 v[44:45], v77, v[44:45]
	v_bfi_b32 v47, v47, 0, 0
	s_delay_alu instid0(VALU_DEP_1) | instskip(NEXT) | instid1(VALU_DEP_3)
	v_cmp_eq_u64_e64 s8, v[46:47], v[90:91]
	v_mov_b64_e32 v[46:47], v[44:45]
	s_and_saveexec_b32 s24, s8
; %bb.590:                              ;   in Loop: Header=BB0_380 Depth=3
	v_bfe_u32 v46, v44, 21, 1
	v_mov_b32_e32 v47, v65
	s_delay_alu instid0(VALU_DEP_1) | instskip(NEXT) | instid1(VALU_DEP_1)
	v_add_nc_u64_e32 v[46:47], v[44:45], v[46:47]
	v_add_nc_u64_e32 v[46:47], -1, v[46:47]
; %bb.591:                              ;   in Loop: Header=BB0_380 Depth=3
	s_or_b32 exec_lo, exec_lo, s24
	v_add_nc_u32_e32 v5, 0xffffff81, v5
	v_lshrrev_b32_e32 v45, 23, v44
	s_mov_b32 s8, exec_lo
	s_delay_alu instid0(VALU_DEP_2) | instskip(NEXT) | instid1(VALU_DEP_1)
	v_cndmask_b32_e64 v5, v5, 0xffffff82, vcc_lo
	v_add3_u32 v47, v77, v5, v45
	v_and_b32_e32 v5, 0x1fffff, v46
	s_delay_alu instid0(VALU_DEP_2) | instskip(NEXT) | instid1(VALU_DEP_2)
	v_dual_mov_b32 v45, v65 :: v_dual_add_nc_u32 v46, 14, v47
	v_add_nc_u32_e32 v44, v5, v44
                                        ; implicit-def: $vgpr5
	s_delay_alu instid0(VALU_DEP_2)
	v_cmpx_ne_u32_e32 0, v46
	s_xor_b32 s8, exec_lo, s8
; %bb.592:                              ;   in Loop: Header=BB0_380 Depth=3
	s_delay_alu instid0(VALU_DEP_2) | instskip(SKIP_1) | instid1(VALU_DEP_1)
	v_cmp_lt_u64_e32 vcc_lo, 0xffffff, v[44:45]
	v_add_nc_u32_e32 v5, 15, v47
	v_cndmask_b32_e32 v5, v46, v5, vcc_lo
	v_cndmask_b32_e64 v46, 0, 1, vcc_lo
	s_delay_alu instid0(VALU_DEP_1)
	v_lshrrev_b64 v[44:45], v46, v[44:45]
; %bb.593:                              ;   in Loop: Header=BB0_380 Depth=3
	s_and_not1_saveexec_b32 s8, s8
; %bb.594:                              ;   in Loop: Header=BB0_380 Depth=3
	s_delay_alu instid0(VALU_DEP_1)
	v_bfe_u32 v5, v44, 23, 1
; %bb.595:                              ;   in Loop: Header=BB0_380 Depth=3
	s_or_b32 exec_lo, exec_lo, s8
	s_delay_alu instid0(VALU_DEP_2) | instskip(NEXT) | instid1(VALU_DEP_2)
	v_lshrrev_b64 v[44:45], 21, v[44:45]
	v_cmp_gt_i32_e32 vcc_lo, 32, v5
	v_min_i32_e32 v46, 31, v5
	v_cmp_eq_u32_e64 s8, 0, v5
	s_delay_alu instid0(VALU_DEP_2) | instskip(SKIP_1) | instid1(VALU_DEP_2)
	v_dual_cndmask_b32 v44, 3, v44, vcc_lo :: v_dual_lshlrev_b32 v46, 2, v46
	v_cndmask_b32_e32 v45, 0, v45, vcc_lo
	v_and_b32_e32 v46, 0xfc, v46
	s_delay_alu instid0(VALU_DEP_2) | instskip(NEXT) | instid1(VALU_DEP_2)
	v_cmp_eq_u64_e32 vcc_lo, 0, v[44:45]
	v_and_or_b32 v5, v44, 3, v46
	s_and_b32 s8, s8, vcc_lo
	s_delay_alu instid0(VALU_DEP_1) | instid1(SALU_CYCLE_1)
	v_cndmask_b32_e64 v5, v5, 0, s8
	s_delay_alu instid0(VALU_DEP_1)
	v_or_b32_e32 v77, v5, v2
.LBB0_596:                              ;   in Loop: Header=BB0_380 Depth=3
	s_or_b32 exec_lo, exec_lo, s23
                                        ; implicit-def: $vgpr2
.LBB0_597:                              ;   in Loop: Header=BB0_380 Depth=3
	s_and_not1_saveexec_b32 s8, s22
; %bb.598:                              ;   in Loop: Header=BB0_380 Depth=3
	v_or_b32_e32 v77, 0x7b, v2
; %bb.599:                              ;   in Loop: Header=BB0_380 Depth=3
	s_or_b32 exec_lo, exec_lo, s8
                                        ; implicit-def: $vgpr5
                                        ; implicit-def: $vgpr44_vgpr45
                                        ; implicit-def: $vgpr2
.LBB0_600:                              ;   in Loop: Header=BB0_380 Depth=3
	s_and_not1_saveexec_b32 s8, s21
	s_cbranch_execz .LBB0_606
; %bb.601:                              ;   in Loop: Header=BB0_380 Depth=3
	s_mov_b32 s21, exec_lo
                                        ; implicit-def: $vgpr77
	v_cmpx_ne_u64_e32 0, v[44:45]
	s_xor_b32 s21, exec_lo, s21
; %bb.602:                              ;   in Loop: Header=BB0_380 Depth=3
	v_or_b32_e32 v77, 0x7f, v2
                                        ; implicit-def: $vgpr5
; %bb.603:                              ;   in Loop: Header=BB0_380 Depth=3
	s_and_not1_saveexec_b32 s21, s21
; %bb.604:                              ;   in Loop: Header=BB0_380 Depth=3
	v_cmp_lt_i32_e32 vcc_lo, -1, v5
	v_cndmask_b32_e32 v77, 0xfc, v59, vcc_lo
; %bb.605:                              ;   in Loop: Header=BB0_380 Depth=3
	s_or_b32 exec_lo, exec_lo, s21
.LBB0_606:                              ;   in Loop: Header=BB0_380 Depth=3
	s_delay_alu instid0(SALU_CYCLE_1)
	s_or_b32 exec_lo, exec_lo, s8
	v_mov_b32_e32 v44, 0
	s_mov_b32 s8, exec_lo
	v_cmpx_lt_u32_e32 0xffffff, v4
	s_cbranch_execz .LBB0_616
; %bb.607:                              ;   in Loop: Header=BB0_380 Depth=3
	v_lshrrev_b32_e32 v2, 24, v4
	v_bfrev_b32_e32 v44, 1
	s_mov_b32 s21, exec_lo
	s_delay_alu instid0(VALU_DEP_2)
	v_cmpx_ne_u32_e32 0x80, v2
	s_cbranch_execz .LBB0_615
; %bb.608:                              ;   in Loop: Header=BB0_380 Depth=3
	v_and_b32_e32 v5, 0x7c000000, v4
	v_bfe_u32 v45, v4, 24, 2
	s_mov_b32 s22, exec_lo
                                        ; implicit-def: $vgpr44
	s_delay_alu instid0(VALU_DEP_2)
	v_cmpx_ne_u32_e32 0x7c000000, v5
	s_xor_b32 s22, exec_lo, s22
	s_cbranch_execz .LBB0_612
; %bb.609:                              ;   in Loop: Header=BB0_380 Depth=3
	v_bfe_u32 v5, v4, 26, 5
	s_mov_b32 s23, exec_lo
	s_delay_alu instid0(VALU_DEP_1)
	v_cmpx_eq_u32_e32 0, v5
; %bb.610:                              ;   in Loop: Header=BB0_380 Depth=3
	v_clz_i32_u32_e32 v5, v45
	s_delay_alu instid0(VALU_DEP_1) | instskip(NEXT) | instid1(VALU_DEP_1)
	v_min_u32_e32 v5, 32, v5
	v_subrev_nc_u32_e32 v44, 29, v5
	s_delay_alu instid0(VALU_DEP_1) | instskip(NEXT) | instid1(VALU_DEP_1)
	v_lshlrev_b64_e32 v[44:45], v44, v[2:3]
	v_dual_sub_nc_u32 v5, 30, v5 :: v_dual_bitop2_b32 v45, 3, v44 bitop3:0x40
; %bb.611:                              ;   in Loop: Header=BB0_380 Depth=3
	s_or_b32 exec_lo, exec_lo, s23
	v_and_b32_e32 v2, 0x80000000, v4
	s_delay_alu instid0(VALU_DEP_1) | instskip(NEXT) | instid1(VALU_DEP_1)
	v_lshl_add_u32 v2, v5, 23, v2
                                        ; implicit-def: $vgpr4_vgpr5
	v_lshl_or_b32 v2, v45, 21, v2
                                        ; implicit-def: $vgpr45
	s_delay_alu instid0(VALU_DEP_1)
	v_add_nc_u32_e32 v44, 0x38000000, v2
.LBB0_612:                              ;   in Loop: Header=BB0_380 Depth=3
	s_and_not1_saveexec_b32 s22, s22
; %bb.613:                              ;   in Loop: Header=BB0_380 Depth=3
	v_cmp_lt_i32_e32 vcc_lo, -1, v4
	v_cndmask_b32_e32 v2, 0xff800000, v21, vcc_lo
	v_cmp_eq_u32_e32 vcc_lo, 0, v45
	s_delay_alu instid0(VALU_DEP_2)
	v_cndmask_b32_e32 v44, 0x7f800001, v2, vcc_lo
; %bb.614:                              ;   in Loop: Header=BB0_380 Depth=3
	s_or_b32 exec_lo, exec_lo, s22
.LBB0_615:                              ;   in Loop: Header=BB0_380 Depth=3
	s_delay_alu instid0(SALU_CYCLE_1)
	s_or_b32 exec_lo, exec_lo, s21
.LBB0_616:                              ;   in Loop: Header=BB0_380 Depth=3
	s_delay_alu instid0(SALU_CYCLE_1) | instskip(NEXT) | instid1(VALU_DEP_1)
	s_or_b32 exec_lo, exec_lo, s8
	v_dual_mul_f32 v44, v56, v44 :: v_dual_mov_b32 v47, v65
	v_mov_b32_e32 v5, v65
                                        ; implicit-def: $vgpr78
	s_mov_b32 s8, exec_lo
	s_delay_alu instid0(VALU_DEP_2) | instskip(SKIP_2) | instid1(VALU_DEP_3)
	v_and_b32_e32 v46, 0x7f800000, v44
	v_and_b32_e32 v4, 0x7fffff, v44
	v_lshrrev_b32_e32 v2, 24, v44
	v_cmpx_ne_u64_e32 0x7f800000, v[46:47]
	s_xor_b32 s21, exec_lo, s8
	s_cbranch_execz .LBB0_630
; %bb.617:                              ;   in Loop: Header=BB0_380 Depth=3
	v_and_b32_e32 v46, 0x7fffffff, v44
	v_mov_b32_e32 v47, v65
	v_and_b32_e32 v2, 0x80, v2
                                        ; implicit-def: $vgpr78
	s_mov_b32 s8, exec_lo
	s_delay_alu instid0(VALU_DEP_2)
	v_cmpx_gt_u64_e32 0x47600001, v[46:47]
	s_xor_b32 s22, exec_lo, s8
	s_cbranch_execz .LBB0_627
; %bb.618:                              ;   in Loop: Header=BB0_380 Depth=3
	v_mov_b32_e32 v78, 0
	s_mov_b32 s23, exec_lo
	v_cmpx_ne_u32_e32 0, v44
	s_cbranch_execz .LBB0_626
; %bb.619:                              ;   in Loop: Header=BB0_380 Depth=3
	v_bfe_u32 v46, v44, 23, 8
	v_or_b32_e32 v78, 0x800000, v4
	s_delay_alu instid0(VALU_DEP_2) | instskip(SKIP_1) | instid1(VALU_DEP_2)
	v_sub_nc_u32_e32 v44, 0x71, v46
	v_cmp_gt_u32_e32 vcc_lo, 0x72, v46
	v_cndmask_b32_e32 v44, 0, v44, vcc_lo
	v_cmp_eq_u32_e32 vcc_lo, 0, v46
	s_delay_alu instid0(VALU_DEP_2) | instskip(NEXT) | instid1(VALU_DEP_1)
	v_cndmask_b32_e64 v47, v44, 0x70, vcc_lo
	v_dual_cndmask_b32 v4, v78, v4, vcc_lo :: v_dual_add_nc_u32 v44, 21, v47
	v_add_nc_u32_e32 v89, 20, v47
	s_delay_alu instid0(VALU_DEP_2) | instskip(NEXT) | instid1(VALU_DEP_2)
	v_lshlrev_b64_e64 v[44:45], v44, -1
	v_lshlrev_b64_e64 v[90:91], v89, 1
	s_delay_alu instid0(VALU_DEP_2) | instskip(SKIP_1) | instid1(VALU_DEP_4)
	v_bfi_b32 v44, v44, 0, v4
	v_lshrrev_b64 v[4:5], v47, v[4:5]
	v_bfi_b32 v45, v45, 0, 0
	s_delay_alu instid0(VALU_DEP_1) | instskip(NEXT) | instid1(VALU_DEP_3)
	v_cmp_eq_u64_e64 s8, v[44:45], v[90:91]
	v_mov_b64_e32 v[44:45], v[4:5]
	s_and_saveexec_b32 s24, s8
; %bb.620:                              ;   in Loop: Header=BB0_380 Depth=3
	v_bfe_u32 v44, v4, 21, 1
	v_mov_b32_e32 v45, v65
	s_delay_alu instid0(VALU_DEP_1) | instskip(NEXT) | instid1(VALU_DEP_1)
	v_add_nc_u64_e32 v[44:45], v[4:5], v[44:45]
	v_add_nc_u64_e32 v[44:45], -1, v[44:45]
; %bb.621:                              ;   in Loop: Header=BB0_380 Depth=3
	s_or_b32 exec_lo, exec_lo, s24
	v_add_nc_u32_e32 v5, 0xffffff81, v46
	v_lshrrev_b32_e32 v45, 23, v4
	s_mov_b32 s8, exec_lo
	s_delay_alu instid0(VALU_DEP_2) | instskip(NEXT) | instid1(VALU_DEP_1)
	v_cndmask_b32_e64 v5, v5, 0xffffff82, vcc_lo
	v_add3_u32 v45, v47, v5, v45
	v_and_b32_e32 v5, 0x1fffff, v44
                                        ; implicit-def: $vgpr44
	s_delay_alu instid0(VALU_DEP_1) | instskip(SKIP_1) | instid1(VALU_DEP_2)
	v_dual_add_nc_u32 v46, 14, v45 :: v_dual_add_nc_u32 v4, v5, v4
	v_mov_b32_e32 v5, v65
	v_cmpx_ne_u32_e32 0, v46
	s_xor_b32 s8, exec_lo, s8
; %bb.622:                              ;   in Loop: Header=BB0_380 Depth=3
	s_delay_alu instid0(VALU_DEP_2) | instskip(SKIP_2) | instid1(VALU_DEP_2)
	v_cmp_lt_u64_e32 vcc_lo, 0xffffff, v[4:5]
	v_add_nc_u32_e32 v44, 15, v45
	v_cndmask_b32_e64 v45, 0, 1, vcc_lo
	v_cndmask_b32_e32 v44, v46, v44, vcc_lo
	s_delay_alu instid0(VALU_DEP_2)
	v_lshrrev_b64 v[4:5], v45, v[4:5]
; %bb.623:                              ;   in Loop: Header=BB0_380 Depth=3
	s_and_not1_saveexec_b32 s8, s8
; %bb.624:                              ;   in Loop: Header=BB0_380 Depth=3
	s_delay_alu instid0(VALU_DEP_1)
	v_bfe_u32 v44, v4, 23, 1
; %bb.625:                              ;   in Loop: Header=BB0_380 Depth=3
	s_or_b32 exec_lo, exec_lo, s8
	s_delay_alu instid0(VALU_DEP_2) | instskip(NEXT) | instid1(VALU_DEP_2)
	v_lshrrev_b64 v[4:5], 21, v[4:5]
	v_cmp_gt_i32_e32 vcc_lo, 32, v44
	v_min_i32_e32 v45, 31, v44
	v_cmp_eq_u32_e64 s8, 0, v44
	s_delay_alu instid0(VALU_DEP_4) | instskip(NEXT) | instid1(VALU_DEP_3)
	v_cndmask_b32_e32 v5, 0, v5, vcc_lo
	v_dual_cndmask_b32 v4, 3, v4 :: v_dual_lshlrev_b32 v45, 2, v45
	s_delay_alu instid0(VALU_DEP_1) | instskip(NEXT) | instid1(VALU_DEP_2)
	v_and_b32_e32 v45, 0xfc, v45
	v_cmp_eq_u64_e32 vcc_lo, 0, v[4:5]
	s_delay_alu instid0(VALU_DEP_2)
	v_and_or_b32 v4, v4, 3, v45
	s_and_b32 s8, s8, vcc_lo
	s_delay_alu instid0(VALU_DEP_1) | instid1(SALU_CYCLE_1)
	v_cndmask_b32_e64 v4, v4, 0, s8
	s_delay_alu instid0(VALU_DEP_1)
	v_or_b32_e32 v78, v4, v2
.LBB0_626:                              ;   in Loop: Header=BB0_380 Depth=3
	s_or_b32 exec_lo, exec_lo, s23
                                        ; implicit-def: $vgpr2
.LBB0_627:                              ;   in Loop: Header=BB0_380 Depth=3
	s_and_not1_saveexec_b32 s8, s22
; %bb.628:                              ;   in Loop: Header=BB0_380 Depth=3
	v_or_b32_e32 v78, 0x7b, v2
; %bb.629:                              ;   in Loop: Header=BB0_380 Depth=3
	s_or_b32 exec_lo, exec_lo, s8
                                        ; implicit-def: $vgpr44
                                        ; implicit-def: $vgpr4_vgpr5
                                        ; implicit-def: $vgpr2
.LBB0_630:                              ;   in Loop: Header=BB0_380 Depth=3
	s_and_not1_saveexec_b32 s8, s21
	s_cbranch_execz .LBB0_636
; %bb.631:                              ;   in Loop: Header=BB0_380 Depth=3
	s_mov_b32 s21, exec_lo
                                        ; implicit-def: $vgpr78
	v_cmpx_ne_u64_e32 0, v[4:5]
	s_xor_b32 s21, exec_lo, s21
; %bb.632:                              ;   in Loop: Header=BB0_380 Depth=3
	v_or_b32_e32 v78, 0x7f, v2
                                        ; implicit-def: $vgpr44
; %bb.633:                              ;   in Loop: Header=BB0_380 Depth=3
	s_and_not1_saveexec_b32 s21, s21
; %bb.634:                              ;   in Loop: Header=BB0_380 Depth=3
	v_cmp_lt_i32_e32 vcc_lo, -1, v44
	v_cndmask_b32_e32 v78, 0xfc, v59, vcc_lo
; %bb.635:                              ;   in Loop: Header=BB0_380 Depth=3
	s_or_b32 exec_lo, exec_lo, s21
.LBB0_636:                              ;   in Loop: Header=BB0_380 Depth=3
	s_delay_alu instid0(SALU_CYCLE_1) | instskip(SKIP_4) | instid1(VALU_DEP_2)
	s_or_b32 exec_lo, exec_lo, s8
	s_wait_loadcnt 0x0
	v_and_b32_e32 v2, 0xff, v16
	v_dual_mov_b32 v44, 0 :: v_dual_mov_b32 v45, 0
	s_mov_b32 s8, exec_lo
	v_cmpx_ne_u16_e32 0, v2
	s_cbranch_execz .LBB0_646
; %bb.637:                              ;   in Loop: Header=BB0_380 Depth=3
	v_bfe_i32 v4, v16, 0, 8
	v_bfrev_b32_e32 v45, 1
	s_mov_b32 s21, exec_lo
	s_delay_alu instid0(VALU_DEP_2)
	v_cmpx_ne_u16_e32 0xff80, v4
	s_cbranch_execz .LBB0_645
; %bb.638:                              ;   in Loop: Header=BB0_380 Depth=3
	v_and_b32_e32 v5, 0x7c, v16
	v_and_b32_e32 v2, 3, v16
	s_mov_b32 s22, exec_lo
                                        ; implicit-def: $vgpr45
	s_delay_alu instid0(VALU_DEP_2)
	v_cmpx_ne_u32_e32 0x7c, v5
	s_xor_b32 s22, exec_lo, s22
	s_cbranch_execz .LBB0_642
; %bb.639:                              ;   in Loop: Header=BB0_380 Depth=3
	v_bfe_u32 v4, v16, 2, 5
	s_mov_b32 s23, exec_lo
	s_delay_alu instid0(VALU_DEP_1)
	v_cmpx_eq_u32_e32 0, v4
; %bb.640:                              ;   in Loop: Header=BB0_380 Depth=3
	v_clz_i32_u32_e32 v2, v2
	s_delay_alu instid0(VALU_DEP_1) | instskip(NEXT) | instid1(VALU_DEP_1)
	v_min_u32_e32 v2, 32, v2
	v_subrev_nc_u32_e32 v4, 29, v2
	s_delay_alu instid0(VALU_DEP_1) | instskip(SKIP_1) | instid1(VALU_DEP_2)
	v_lshlrev_b64_e32 v[46:47], v4, v[16:17]
	v_sub_nc_u32_e32 v4, 30, v2
	v_and_b32_e32 v2, 3, v46
; %bb.641:                              ;   in Loop: Header=BB0_380 Depth=3
	s_or_b32 exec_lo, exec_lo, s23
	v_lshlrev_b32_e32 v5, 24, v16
	s_delay_alu instid0(VALU_DEP_1) | instskip(NEXT) | instid1(VALU_DEP_1)
	v_and_b32_e32 v5, 0x80000000, v5
	v_lshl_add_u32 v4, v4, 23, v5
	s_delay_alu instid0(VALU_DEP_1) | instskip(NEXT) | instid1(VALU_DEP_1)
	v_lshl_or_b32 v2, v2, 21, v4
                                        ; implicit-def: $vgpr4
	v_add_nc_u32_e32 v45, 0x38000000, v2
                                        ; implicit-def: $vgpr2
.LBB0_642:                              ;   in Loop: Header=BB0_380 Depth=3
	s_and_not1_saveexec_b32 s22, s22
; %bb.643:                              ;   in Loop: Header=BB0_380 Depth=3
	v_cmp_lt_i16_e32 vcc_lo, -1, v4
	v_cndmask_b32_e32 v4, 0xff800000, v21, vcc_lo
	v_cmp_eq_u32_e32 vcc_lo, 0, v2
	s_delay_alu instid0(VALU_DEP_2)
	v_cndmask_b32_e32 v45, 0x7f800001, v4, vcc_lo
; %bb.644:                              ;   in Loop: Header=BB0_380 Depth=3
	s_or_b32 exec_lo, exec_lo, s22
.LBB0_645:                              ;   in Loop: Header=BB0_380 Depth=3
	s_delay_alu instid0(SALU_CYCLE_1)
	s_or_b32 exec_lo, exec_lo, s21
.LBB0_646:                              ;   in Loop: Header=BB0_380 Depth=3
	s_delay_alu instid0(SALU_CYCLE_1) | instskip(SKIP_4) | instid1(VALU_DEP_2)
	s_or_b32 exec_lo, exec_lo, s8
	v_lshl_or_b32 v2, v75, 8, v73
	v_dual_lshlrev_b32 v4, 16, v79 :: v_dual_lshlrev_b32 v17, 24, v88
	v_mov_b32_e32 v5, v65
	s_mov_b32 s8, exec_lo
	v_or3_b32 v4, v4, v17, v2
	v_cmpx_ne_u32_e32 0, v73
	s_cbranch_execz .LBB0_656
; %bb.647:                              ;   in Loop: Header=BB0_380 Depth=3
	v_bfrev_b32_e32 v44, 1
	s_mov_b32 s21, exec_lo
	v_cmpx_ne_u32_e32 0x80, v73
	s_cbranch_execz .LBB0_655
; %bb.648:                              ;   in Loop: Header=BB0_380 Depth=3
	v_and_b32_e32 v44, 0x7c, v73
	v_and_b32_e32 v17, 3, v73
	s_delay_alu instid0(VALU_DEP_2) | instskip(SKIP_1) | instid1(SALU_CYCLE_1)
	v_cmp_ne_u32_e32 vcc_lo, 0x7c, v44
                                        ; implicit-def: $vgpr44
	s_and_saveexec_b32 s22, vcc_lo
	s_xor_b32 s22, exec_lo, s22
	s_cbranch_execz .LBB0_652
; %bb.649:                              ;   in Loop: Header=BB0_380 Depth=3
	v_bfe_u32 v44, v73, 2, 5
	s_mov_b32 s23, exec_lo
	s_delay_alu instid0(VALU_DEP_1)
	v_cmpx_eq_u32_e32 0, v44
; %bb.650:                              ;   in Loop: Header=BB0_380 Depth=3
	v_clz_i32_u32_e32 v17, v17
	s_delay_alu instid0(VALU_DEP_1) | instskip(NEXT) | instid1(VALU_DEP_1)
	v_min_u32_e32 v17, 32, v17
	v_subrev_nc_u32_e32 v44, 29, v17
	s_delay_alu instid0(VALU_DEP_1) | instskip(NEXT) | instid1(VALU_DEP_1)
	v_lshlrev_b64_e32 v[46:47], v44, v[4:5]
	v_dual_sub_nc_u32 v44, 30, v17 :: v_dual_bitop2_b32 v17, 3, v46 bitop3:0x40
; %bb.651:                              ;   in Loop: Header=BB0_380 Depth=3
	s_or_b32 exec_lo, exec_lo, s23
	v_lshlrev_b32_e32 v5, 24, v73
                                        ; implicit-def: $vgpr73
	s_delay_alu instid0(VALU_DEP_1) | instskip(NEXT) | instid1(VALU_DEP_1)
	v_and_b32_e32 v5, 0x80000000, v5
	v_lshl_add_u32 v5, v44, 23, v5
	s_delay_alu instid0(VALU_DEP_1) | instskip(NEXT) | instid1(VALU_DEP_1)
	v_lshl_or_b32 v5, v17, 21, v5
                                        ; implicit-def: $vgpr17
	v_add_nc_u32_e32 v44, 0x38000000, v5
.LBB0_652:                              ;   in Loop: Header=BB0_380 Depth=3
	s_and_not1_saveexec_b32 s22, s22
; %bb.653:                              ;   in Loop: Header=BB0_380 Depth=3
	v_and_b32_e32 v5, 0x80, v73
	s_delay_alu instid0(VALU_DEP_1) | instskip(SKIP_2) | instid1(VALU_DEP_2)
	v_cmp_eq_u32_e32 vcc_lo, 0, v5
	v_cndmask_b32_e32 v5, 0xff800000, v21, vcc_lo
	v_cmp_eq_u32_e32 vcc_lo, 0, v17
	v_cndmask_b32_e32 v44, 0x7f800001, v5, vcc_lo
; %bb.654:                              ;   in Loop: Header=BB0_380 Depth=3
	s_or_b32 exec_lo, exec_lo, s22
.LBB0_655:                              ;   in Loop: Header=BB0_380 Depth=3
	s_delay_alu instid0(SALU_CYCLE_1)
	s_or_b32 exec_lo, exec_lo, s21
.LBB0_656:                              ;   in Loop: Header=BB0_380 Depth=3
	s_delay_alu instid0(SALU_CYCLE_1) | instskip(NEXT) | instid1(VALU_DEP_1)
	s_or_b32 exec_lo, exec_lo, s8
	v_add_f32_e32 v17, v45, v44
	v_dual_mov_b32 v47, v65 :: v_dual_mov_b32 v45, v65
                                        ; implicit-def: $vgpr73
	s_mov_b32 s8, exec_lo
	s_delay_alu instid0(VALU_DEP_2) | instskip(SKIP_2) | instid1(VALU_DEP_3)
	v_and_b32_e32 v46, 0x7f800000, v17
	v_and_b32_e32 v44, 0x7fffff, v17
	v_lshrrev_b32_e32 v5, 24, v17
	v_cmpx_ne_u64_e32 0x7f800000, v[46:47]
	s_xor_b32 s21, exec_lo, s8
	s_cbranch_execz .LBB0_670
; %bb.657:                              ;   in Loop: Header=BB0_380 Depth=3
	v_and_b32_e32 v46, 0x7fffffff, v17
	v_mov_b32_e32 v47, v65
	v_and_b32_e32 v5, 0x80, v5
                                        ; implicit-def: $vgpr73
	s_mov_b32 s8, exec_lo
	s_delay_alu instid0(VALU_DEP_2)
	v_cmpx_gt_u64_e32 0x47600001, v[46:47]
	s_xor_b32 s22, exec_lo, s8
	s_cbranch_execz .LBB0_667
; %bb.658:                              ;   in Loop: Header=BB0_380 Depth=3
	v_mov_b32_e32 v73, 0
	s_mov_b32 s23, exec_lo
	v_cmpx_ne_u32_e32 0, v17
	s_cbranch_execz .LBB0_666
; %bb.659:                              ;   in Loop: Header=BB0_380 Depth=3
	v_bfe_u32 v17, v17, 23, 8
	v_or_b32_e32 v75, 0x800000, v44
	s_delay_alu instid0(VALU_DEP_2) | instskip(SKIP_1) | instid1(VALU_DEP_2)
	v_sub_nc_u32_e32 v46, 0x71, v17
	v_cmp_gt_u32_e32 vcc_lo, 0x72, v17
	v_cndmask_b32_e32 v46, 0, v46, vcc_lo
	v_cmp_eq_u32_e32 vcc_lo, 0, v17
	s_delay_alu instid0(VALU_DEP_2) | instskip(NEXT) | instid1(VALU_DEP_1)
	v_cndmask_b32_e64 v73, v46, 0x70, vcc_lo
	v_dual_cndmask_b32 v44, v75, v44, vcc_lo :: v_dual_add_nc_u32 v46, 21, v73
	v_add_nc_u32_e32 v79, 20, v73
	s_delay_alu instid0(VALU_DEP_2) | instskip(NEXT) | instid1(VALU_DEP_2)
	v_lshlrev_b64_e64 v[46:47], v46, -1
	v_lshlrev_b64_e64 v[88:89], v79, 1
	s_delay_alu instid0(VALU_DEP_2) | instskip(SKIP_1) | instid1(VALU_DEP_4)
	v_bfi_b32 v46, v46, 0, v44
	v_lshrrev_b64 v[44:45], v73, v[44:45]
	v_bfi_b32 v47, v47, 0, 0
	s_delay_alu instid0(VALU_DEP_1) | instskip(NEXT) | instid1(VALU_DEP_3)
	v_cmp_eq_u64_e64 s8, v[46:47], v[88:89]
	v_mov_b64_e32 v[46:47], v[44:45]
	s_and_saveexec_b32 s24, s8
; %bb.660:                              ;   in Loop: Header=BB0_380 Depth=3
	v_bfe_u32 v46, v44, 21, 1
	v_mov_b32_e32 v47, v65
	s_delay_alu instid0(VALU_DEP_1) | instskip(NEXT) | instid1(VALU_DEP_1)
	v_add_nc_u64_e32 v[46:47], v[44:45], v[46:47]
	v_add_nc_u64_e32 v[46:47], -1, v[46:47]
; %bb.661:                              ;   in Loop: Header=BB0_380 Depth=3
	s_or_b32 exec_lo, exec_lo, s24
	v_add_nc_u32_e32 v17, 0xffffff81, v17
	v_lshrrev_b32_e32 v45, 23, v44
	s_mov_b32 s8, exec_lo
	s_delay_alu instid0(VALU_DEP_2) | instskip(NEXT) | instid1(VALU_DEP_1)
	v_cndmask_b32_e64 v17, v17, 0xffffff82, vcc_lo
	v_add3_u32 v47, v73, v17, v45
	v_and_b32_e32 v17, 0x1fffff, v46
	s_delay_alu instid0(VALU_DEP_2) | instskip(NEXT) | instid1(VALU_DEP_2)
	v_dual_mov_b32 v45, v65 :: v_dual_add_nc_u32 v46, 14, v47
	v_add_nc_u32_e32 v44, v17, v44
                                        ; implicit-def: $vgpr17
	s_delay_alu instid0(VALU_DEP_2)
	v_cmpx_ne_u32_e32 0, v46
	s_xor_b32 s8, exec_lo, s8
; %bb.662:                              ;   in Loop: Header=BB0_380 Depth=3
	s_delay_alu instid0(VALU_DEP_2) | instskip(SKIP_1) | instid1(VALU_DEP_1)
	v_cmp_lt_u64_e32 vcc_lo, 0xffffff, v[44:45]
	v_add_nc_u32_e32 v17, 15, v47
	v_cndmask_b32_e32 v17, v46, v17, vcc_lo
	v_cndmask_b32_e64 v46, 0, 1, vcc_lo
	s_delay_alu instid0(VALU_DEP_1)
	v_lshrrev_b64 v[44:45], v46, v[44:45]
; %bb.663:                              ;   in Loop: Header=BB0_380 Depth=3
	s_and_not1_saveexec_b32 s8, s8
; %bb.664:                              ;   in Loop: Header=BB0_380 Depth=3
	s_delay_alu instid0(VALU_DEP_1)
	v_bfe_u32 v17, v44, 23, 1
; %bb.665:                              ;   in Loop: Header=BB0_380 Depth=3
	s_or_b32 exec_lo, exec_lo, s8
	s_delay_alu instid0(VALU_DEP_2) | instskip(NEXT) | instid1(VALU_DEP_2)
	v_lshrrev_b64 v[44:45], 21, v[44:45]
	v_cmp_gt_i32_e32 vcc_lo, 32, v17
	v_min_i32_e32 v46, 31, v17
	v_cmp_eq_u32_e64 s8, 0, v17
	s_delay_alu instid0(VALU_DEP_2) | instskip(SKIP_1) | instid1(VALU_DEP_2)
	v_dual_cndmask_b32 v44, 3, v44, vcc_lo :: v_dual_lshlrev_b32 v46, 2, v46
	v_cndmask_b32_e32 v45, 0, v45, vcc_lo
	v_and_b32_e32 v46, 0xfc, v46
	s_delay_alu instid0(VALU_DEP_2) | instskip(NEXT) | instid1(VALU_DEP_2)
	v_cmp_eq_u64_e32 vcc_lo, 0, v[44:45]
	v_and_or_b32 v17, v44, 3, v46
	s_and_b32 s8, s8, vcc_lo
	s_delay_alu instid0(VALU_DEP_1) | instid1(SALU_CYCLE_1)
	v_cndmask_b32_e64 v17, v17, 0, s8
	s_delay_alu instid0(VALU_DEP_1)
	v_or_b32_e32 v73, v17, v5
.LBB0_666:                              ;   in Loop: Header=BB0_380 Depth=3
	s_or_b32 exec_lo, exec_lo, s23
                                        ; implicit-def: $vgpr5
.LBB0_667:                              ;   in Loop: Header=BB0_380 Depth=3
	s_and_not1_saveexec_b32 s8, s22
; %bb.668:                              ;   in Loop: Header=BB0_380 Depth=3
	v_or_b32_e32 v73, 0x7b, v5
; %bb.669:                              ;   in Loop: Header=BB0_380 Depth=3
	s_or_b32 exec_lo, exec_lo, s8
                                        ; implicit-def: $vgpr17
                                        ; implicit-def: $vgpr44_vgpr45
                                        ; implicit-def: $vgpr5
.LBB0_670:                              ;   in Loop: Header=BB0_380 Depth=3
	s_and_not1_saveexec_b32 s8, s21
	s_cbranch_execz .LBB0_676
; %bb.671:                              ;   in Loop: Header=BB0_380 Depth=3
	s_mov_b32 s21, exec_lo
                                        ; implicit-def: $vgpr73
	v_cmpx_ne_u64_e32 0, v[44:45]
	s_xor_b32 s21, exec_lo, s21
; %bb.672:                              ;   in Loop: Header=BB0_380 Depth=3
	v_or_b32_e32 v73, 0x7f, v5
                                        ; implicit-def: $vgpr17
; %bb.673:                              ;   in Loop: Header=BB0_380 Depth=3
	s_and_not1_saveexec_b32 s21, s21
; %bb.674:                              ;   in Loop: Header=BB0_380 Depth=3
	v_cmp_lt_i32_e32 vcc_lo, -1, v17
	v_cndmask_b32_e32 v73, 0xfc, v59, vcc_lo
; %bb.675:                              ;   in Loop: Header=BB0_380 Depth=3
	s_or_b32 exec_lo, exec_lo, s21
.LBB0_676:                              ;   in Loop: Header=BB0_380 Depth=3
	s_delay_alu instid0(SALU_CYCLE_1) | instskip(SKIP_3) | instid1(VALU_DEP_2)
	s_or_b32 exec_lo, exec_lo, s8
	v_lshrrev_b16 v44, 8, v16
	v_dual_mov_b32 v5, 0 :: v_dual_mov_b32 v17, 0
	s_mov_b32 s8, exec_lo
	v_cmpx_ne_u16_e32 0, v44
	s_cbranch_execz .LBB0_686
; %bb.677:                              ;   in Loop: Header=BB0_380 Depth=3
	v_bfrev_b32_e32 v17, 1
	s_mov_b32 s21, exec_lo
	v_cmpx_ne_u16_e32 0x80, v44
	s_cbranch_execz .LBB0_685
; %bb.678:                              ;   in Loop: Header=BB0_380 Depth=3
	v_and_b32_e32 v46, 0xffff, v44
	s_delay_alu instid0(VALU_DEP_1) | instskip(SKIP_1) | instid1(VALU_DEP_2)
	v_and_b32_e32 v17, 0x7c, v46
	v_and_b32_e32 v45, 3, v46
	v_cmp_ne_u32_e32 vcc_lo, 0x7c, v17
                                        ; implicit-def: $vgpr17
	s_and_saveexec_b32 s22, vcc_lo
	s_delay_alu instid0(SALU_CYCLE_1)
	s_xor_b32 s22, exec_lo, s22
	s_cbranch_execz .LBB0_682
; %bb.679:                              ;   in Loop: Header=BB0_380 Depth=3
	v_bfe_u32 v17, v46, 2, 5
	s_mov_b32 s23, exec_lo
	s_delay_alu instid0(VALU_DEP_1)
	v_cmpx_eq_u32_e32 0, v17
	s_cbranch_execz .LBB0_681
; %bb.680:                              ;   in Loop: Header=BB0_380 Depth=3
	v_clz_i32_u32_e32 v17, v45
	s_delay_alu instid0(VALU_DEP_1) | instskip(SKIP_1) | instid1(VALU_DEP_2)
	v_min_u32_e32 v17, 32, v17
	v_mov_b32_e32 v45, v65
	v_subrev_nc_u32_e32 v46, 29, v17
	v_sub_nc_u32_e32 v17, 30, v17
	s_delay_alu instid0(VALU_DEP_2) | instskip(NEXT) | instid1(VALU_DEP_1)
	v_lshlrev_b64_e32 v[44:45], v46, v[44:45]
	v_and_b32_e32 v45, 3, v44
.LBB0_681:                              ;   in Loop: Header=BB0_380 Depth=3
	s_or_b32 exec_lo, exec_lo, s23
	v_lshlrev_b32_e32 v44, 16, v16
	s_delay_alu instid0(VALU_DEP_1) | instskip(NEXT) | instid1(VALU_DEP_1)
	v_and_b32_e32 v44, 0x80000000, v44
	v_lshl_add_u32 v17, v17, 23, v44
	s_delay_alu instid0(VALU_DEP_1) | instskip(NEXT) | instid1(VALU_DEP_1)
	v_lshl_or_b32 v17, v45, 21, v17
                                        ; implicit-def: $vgpr45
	v_add_nc_u32_e32 v17, 0x38000000, v17
.LBB0_682:                              ;   in Loop: Header=BB0_380 Depth=3
	s_and_not1_saveexec_b32 s22, s22
; %bb.683:                              ;   in Loop: Header=BB0_380 Depth=3
	v_cmp_lt_i16_e32 vcc_lo, -1, v16
	v_cndmask_b32_e32 v17, 0xff800000, v21, vcc_lo
	v_cmp_eq_u32_e32 vcc_lo, 0, v45
	s_delay_alu instid0(VALU_DEP_2)
	v_cndmask_b32_e32 v17, 0x7f800001, v17, vcc_lo
; %bb.684:                              ;   in Loop: Header=BB0_380 Depth=3
	s_or_b32 exec_lo, exec_lo, s22
.LBB0_685:                              ;   in Loop: Header=BB0_380 Depth=3
	s_delay_alu instid0(SALU_CYCLE_1)
	s_or_b32 exec_lo, exec_lo, s21
.LBB0_686:                              ;   in Loop: Header=BB0_380 Depth=3
	s_delay_alu instid0(SALU_CYCLE_1) | instskip(SKIP_2) | instid1(VALU_DEP_1)
	s_or_b32 exec_lo, exec_lo, s8
	v_lshrrev_b16 v44, 8, v2
	s_mov_b32 s8, exec_lo
	v_cmpx_ne_u16_e32 0, v44
	s_cbranch_execz .LBB0_696
; %bb.687:                              ;   in Loop: Header=BB0_380 Depth=3
	v_bfrev_b32_e32 v5, 1
	s_mov_b32 s21, exec_lo
	v_cmpx_ne_u16_e32 0x80, v44
	s_cbranch_execz .LBB0_695
; %bb.688:                              ;   in Loop: Header=BB0_380 Depth=3
	v_and_b32_e32 v46, 0xffff, v44
	s_delay_alu instid0(VALU_DEP_1) | instskip(SKIP_1) | instid1(VALU_DEP_2)
	v_and_b32_e32 v5, 0x7c, v46
	v_and_b32_e32 v45, 3, v46
	v_cmp_ne_u32_e32 vcc_lo, 0x7c, v5
                                        ; implicit-def: $vgpr5
	s_and_saveexec_b32 s22, vcc_lo
	s_delay_alu instid0(SALU_CYCLE_1)
	s_xor_b32 s22, exec_lo, s22
	s_cbranch_execz .LBB0_692
; %bb.689:                              ;   in Loop: Header=BB0_380 Depth=3
	v_bfe_u32 v5, v46, 2, 5
	s_mov_b32 s23, exec_lo
	s_delay_alu instid0(VALU_DEP_1)
	v_cmpx_eq_u32_e32 0, v5
	s_cbranch_execz .LBB0_691
; %bb.690:                              ;   in Loop: Header=BB0_380 Depth=3
	v_clz_i32_u32_e32 v5, v45
	s_delay_alu instid0(VALU_DEP_1) | instskip(SKIP_1) | instid1(VALU_DEP_2)
	v_min_u32_e32 v5, 32, v5
	v_mov_b32_e32 v45, v65
	v_subrev_nc_u32_e32 v46, 29, v5
	v_sub_nc_u32_e32 v5, 30, v5
	s_delay_alu instid0(VALU_DEP_2) | instskip(NEXT) | instid1(VALU_DEP_1)
	v_lshlrev_b64_e32 v[44:45], v46, v[44:45]
	v_and_b32_e32 v45, 3, v44
.LBB0_691:                              ;   in Loop: Header=BB0_380 Depth=3
	s_or_b32 exec_lo, exec_lo, s23
	v_lshlrev_b32_e32 v2, 16, v2
	s_delay_alu instid0(VALU_DEP_1) | instskip(NEXT) | instid1(VALU_DEP_1)
	v_and_b32_e32 v2, 0x80000000, v2
	v_lshl_add_u32 v2, v5, 23, v2
	s_delay_alu instid0(VALU_DEP_1) | instskip(NEXT) | instid1(VALU_DEP_1)
	v_lshl_or_b32 v2, v45, 21, v2
                                        ; implicit-def: $vgpr45
	v_add_nc_u32_e32 v5, 0x38000000, v2
                                        ; implicit-def: $vgpr2
.LBB0_692:                              ;   in Loop: Header=BB0_380 Depth=3
	s_and_not1_saveexec_b32 s22, s22
; %bb.693:                              ;   in Loop: Header=BB0_380 Depth=3
	v_cmp_lt_i16_e32 vcc_lo, -1, v2
	v_cndmask_b32_e32 v2, 0xff800000, v21, vcc_lo
	v_cmp_eq_u32_e32 vcc_lo, 0, v45
	s_delay_alu instid0(VALU_DEP_2)
	v_cndmask_b32_e32 v5, 0x7f800001, v2, vcc_lo
; %bb.694:                              ;   in Loop: Header=BB0_380 Depth=3
	s_or_b32 exec_lo, exec_lo, s22
.LBB0_695:                              ;   in Loop: Header=BB0_380 Depth=3
	s_delay_alu instid0(SALU_CYCLE_1)
	s_or_b32 exec_lo, exec_lo, s21
.LBB0_696:                              ;   in Loop: Header=BB0_380 Depth=3
	s_delay_alu instid0(SALU_CYCLE_1) | instskip(NEXT) | instid1(VALU_DEP_1)
	s_or_b32 exec_lo, exec_lo, s8
	v_add_f32_e32 v5, v17, v5
	v_dual_mov_b32 v47, v65 :: v_dual_mov_b32 v45, v65
                                        ; implicit-def: $vgpr75
	s_mov_b32 s8, exec_lo
	s_delay_alu instid0(VALU_DEP_2) | instskip(SKIP_2) | instid1(VALU_DEP_3)
	v_and_b32_e32 v46, 0x7f800000, v5
	v_and_b32_e32 v44, 0x7fffff, v5
	v_lshrrev_b32_e32 v2, 24, v5
	v_cmpx_ne_u64_e32 0x7f800000, v[46:47]
	s_xor_b32 s21, exec_lo, s8
	s_cbranch_execz .LBB0_710
; %bb.697:                              ;   in Loop: Header=BB0_380 Depth=3
	v_and_b32_e32 v46, 0x7fffffff, v5
	v_mov_b32_e32 v47, v65
	v_and_b32_e32 v2, 0x80, v2
                                        ; implicit-def: $vgpr75
	s_mov_b32 s8, exec_lo
	s_delay_alu instid0(VALU_DEP_2)
	v_cmpx_gt_u64_e32 0x47600001, v[46:47]
	s_xor_b32 s22, exec_lo, s8
	s_cbranch_execz .LBB0_707
; %bb.698:                              ;   in Loop: Header=BB0_380 Depth=3
	v_mov_b32_e32 v75, 0
	s_mov_b32 s23, exec_lo
	v_cmpx_ne_u32_e32 0, v5
	s_cbranch_execz .LBB0_706
; %bb.699:                              ;   in Loop: Header=BB0_380 Depth=3
	v_bfe_u32 v5, v5, 23, 8
	v_or_b32_e32 v75, 0x800000, v44
	s_delay_alu instid0(VALU_DEP_2) | instskip(SKIP_1) | instid1(VALU_DEP_2)
	v_sub_nc_u32_e32 v17, 0x71, v5
	v_cmp_gt_u32_e32 vcc_lo, 0x72, v5
	v_cndmask_b32_e32 v17, 0, v17, vcc_lo
	v_cmp_eq_u32_e32 vcc_lo, 0, v5
	s_delay_alu instid0(VALU_DEP_2) | instskip(NEXT) | instid1(VALU_DEP_1)
	v_cndmask_b32_e64 v17, v17, 0x70, vcc_lo
	v_dual_cndmask_b32 v44, v75, v44, vcc_lo :: v_dual_add_nc_u32 v46, 21, v17
	v_add_nc_u32_e32 v79, 20, v17
	s_delay_alu instid0(VALU_DEP_2) | instskip(NEXT) | instid1(VALU_DEP_2)
	v_lshlrev_b64_e64 v[46:47], v46, -1
	v_lshlrev_b64_e64 v[88:89], v79, 1
	s_delay_alu instid0(VALU_DEP_2) | instskip(SKIP_1) | instid1(VALU_DEP_4)
	v_bfi_b32 v46, v46, 0, v44
	v_lshrrev_b64 v[44:45], v17, v[44:45]
	v_bfi_b32 v47, v47, 0, 0
	s_delay_alu instid0(VALU_DEP_1) | instskip(NEXT) | instid1(VALU_DEP_3)
	v_cmp_eq_u64_e64 s8, v[46:47], v[88:89]
	v_mov_b64_e32 v[46:47], v[44:45]
	s_and_saveexec_b32 s24, s8
; %bb.700:                              ;   in Loop: Header=BB0_380 Depth=3
	v_bfe_u32 v46, v44, 21, 1
	v_mov_b32_e32 v47, v65
	s_delay_alu instid0(VALU_DEP_1) | instskip(NEXT) | instid1(VALU_DEP_1)
	v_add_nc_u64_e32 v[46:47], v[44:45], v[46:47]
	v_add_nc_u64_e32 v[46:47], -1, v[46:47]
; %bb.701:                              ;   in Loop: Header=BB0_380 Depth=3
	s_or_b32 exec_lo, exec_lo, s24
	v_add_nc_u32_e32 v5, 0xffffff81, v5
	v_lshrrev_b32_e32 v45, 23, v44
	s_mov_b32 s8, exec_lo
	s_delay_alu instid0(VALU_DEP_2) | instskip(NEXT) | instid1(VALU_DEP_1)
	v_cndmask_b32_e64 v5, v5, 0xffffff82, vcc_lo
	v_add3_u32 v17, v17, v5, v45
	v_and_b32_e32 v5, 0x1fffff, v46
	s_delay_alu instid0(VALU_DEP_2) | instskip(NEXT) | instid1(VALU_DEP_2)
	v_dual_mov_b32 v45, v65 :: v_dual_add_nc_u32 v46, 14, v17
	v_add_nc_u32_e32 v44, v5, v44
                                        ; implicit-def: $vgpr5
	s_delay_alu instid0(VALU_DEP_2)
	v_cmpx_ne_u32_e32 0, v46
	s_xor_b32 s8, exec_lo, s8
; %bb.702:                              ;   in Loop: Header=BB0_380 Depth=3
	s_delay_alu instid0(VALU_DEP_2) | instskip(SKIP_2) | instid1(VALU_DEP_2)
	v_cmp_lt_u64_e32 vcc_lo, 0xffffff, v[44:45]
	v_add_nc_u32_e32 v5, 15, v17
	v_cndmask_b32_e64 v17, 0, 1, vcc_lo
	v_cndmask_b32_e32 v5, v46, v5, vcc_lo
	s_delay_alu instid0(VALU_DEP_2)
	v_lshrrev_b64 v[44:45], v17, v[44:45]
; %bb.703:                              ;   in Loop: Header=BB0_380 Depth=3
	s_and_not1_saveexec_b32 s8, s8
; %bb.704:                              ;   in Loop: Header=BB0_380 Depth=3
	s_delay_alu instid0(VALU_DEP_1)
	v_bfe_u32 v5, v44, 23, 1
; %bb.705:                              ;   in Loop: Header=BB0_380 Depth=3
	s_or_b32 exec_lo, exec_lo, s8
	s_delay_alu instid0(VALU_DEP_2) | instskip(NEXT) | instid1(VALU_DEP_2)
	v_lshrrev_b64 v[44:45], 21, v[44:45]
	v_cmp_gt_i32_e32 vcc_lo, 32, v5
	v_min_i32_e32 v17, 31, v5
	v_cmp_eq_u32_e64 s8, 0, v5
	s_delay_alu instid0(VALU_DEP_2) | instskip(SKIP_1) | instid1(VALU_DEP_2)
	v_dual_cndmask_b32 v44, 3, v44 :: v_dual_lshlrev_b32 v17, 2, v17
	v_cndmask_b32_e32 v45, 0, v45, vcc_lo
	v_and_b32_e32 v17, 0xfc, v17
	s_delay_alu instid0(VALU_DEP_2) | instskip(NEXT) | instid1(VALU_DEP_2)
	v_cmp_eq_u64_e32 vcc_lo, 0, v[44:45]
	v_and_or_b32 v5, v44, 3, v17
	s_and_b32 s8, s8, vcc_lo
	s_delay_alu instid0(VALU_DEP_1) | instid1(SALU_CYCLE_1)
	v_cndmask_b32_e64 v5, v5, 0, s8
	s_delay_alu instid0(VALU_DEP_1)
	v_or_b32_e32 v75, v5, v2
.LBB0_706:                              ;   in Loop: Header=BB0_380 Depth=3
	s_or_b32 exec_lo, exec_lo, s23
                                        ; implicit-def: $vgpr2
.LBB0_707:                              ;   in Loop: Header=BB0_380 Depth=3
	s_and_not1_saveexec_b32 s8, s22
; %bb.708:                              ;   in Loop: Header=BB0_380 Depth=3
	v_or_b32_e32 v75, 0x7b, v2
; %bb.709:                              ;   in Loop: Header=BB0_380 Depth=3
	s_or_b32 exec_lo, exec_lo, s8
                                        ; implicit-def: $vgpr5
                                        ; implicit-def: $vgpr44_vgpr45
                                        ; implicit-def: $vgpr2
.LBB0_710:                              ;   in Loop: Header=BB0_380 Depth=3
	s_and_not1_saveexec_b32 s8, s21
	s_cbranch_execz .LBB0_716
; %bb.711:                              ;   in Loop: Header=BB0_380 Depth=3
	s_mov_b32 s21, exec_lo
                                        ; implicit-def: $vgpr75
	v_cmpx_ne_u64_e32 0, v[44:45]
	s_xor_b32 s21, exec_lo, s21
; %bb.712:                              ;   in Loop: Header=BB0_380 Depth=3
	v_or_b32_e32 v75, 0x7f, v2
                                        ; implicit-def: $vgpr5
; %bb.713:                              ;   in Loop: Header=BB0_380 Depth=3
	s_and_not1_saveexec_b32 s21, s21
; %bb.714:                              ;   in Loop: Header=BB0_380 Depth=3
	v_cmp_lt_i32_e32 vcc_lo, -1, v5
	v_cndmask_b32_e32 v75, 0xfc, v59, vcc_lo
; %bb.715:                              ;   in Loop: Header=BB0_380 Depth=3
	s_or_b32 exec_lo, exec_lo, s21
.LBB0_716:                              ;   in Loop: Header=BB0_380 Depth=3
	s_delay_alu instid0(SALU_CYCLE_1) | instskip(SKIP_3) | instid1(VALU_DEP_2)
	s_or_b32 exec_lo, exec_lo, s8
	v_dual_mov_b32 v17, 0 :: v_dual_lshrrev_b32 v2, 16, v16
	v_mov_b32_e32 v5, 0
	s_mov_b32 s8, exec_lo
	v_and_b32_e32 v44, 0xff, v2
	s_delay_alu instid0(VALU_DEP_1)
	v_cmpx_ne_u16_e32 0, v44
	s_cbranch_execz .LBB0_726
; %bb.717:                              ;   in Loop: Header=BB0_380 Depth=3
	v_bfrev_b32_e32 v5, 1
	s_mov_b32 s21, exec_lo
	v_cmpx_ne_u16_e32 0x80, v44
	s_cbranch_execz .LBB0_725
; %bb.718:                              ;   in Loop: Header=BB0_380 Depth=3
	v_and_b32_e32 v5, 0x7c0000, v16
	v_bfe_u32 v44, v16, 16, 2
	s_delay_alu instid0(VALU_DEP_2) | instskip(SKIP_1) | instid1(SALU_CYCLE_1)
	v_cmp_ne_u32_e32 vcc_lo, 0x7c0000, v5
                                        ; implicit-def: $vgpr5
	s_and_saveexec_b32 s22, vcc_lo
	s_xor_b32 s22, exec_lo, s22
	s_cbranch_execz .LBB0_722
; %bb.719:                              ;   in Loop: Header=BB0_380 Depth=3
	v_bfe_u32 v5, v16, 18, 5
	s_mov_b32 s23, exec_lo
	s_delay_alu instid0(VALU_DEP_1)
	v_cmpx_eq_u32_e32 0, v5
; %bb.720:                              ;   in Loop: Header=BB0_380 Depth=3
	v_clz_i32_u32_e32 v5, v44
	s_delay_alu instid0(VALU_DEP_1) | instskip(NEXT) | instid1(VALU_DEP_1)
	v_min_u32_e32 v5, 32, v5
	v_subrev_nc_u32_e32 v44, 29, v5
	s_delay_alu instid0(VALU_DEP_1) | instskip(NEXT) | instid1(VALU_DEP_1)
	v_lshlrev_b64_e32 v[44:45], v44, v[2:3]
	v_dual_sub_nc_u32 v5, 30, v5 :: v_dual_bitop2_b32 v44, 3, v44 bitop3:0x40
; %bb.721:                              ;   in Loop: Header=BB0_380 Depth=3
	s_or_b32 exec_lo, exec_lo, s23
	v_lshlrev_b32_e32 v2, 24, v2
	s_delay_alu instid0(VALU_DEP_1) | instskip(NEXT) | instid1(VALU_DEP_1)
	v_and_b32_e32 v2, 0x80000000, v2
	v_lshl_add_u32 v2, v5, 23, v2
	s_delay_alu instid0(VALU_DEP_1) | instskip(NEXT) | instid1(VALU_DEP_1)
	v_lshl_or_b32 v2, v44, 21, v2
                                        ; implicit-def: $vgpr44
	v_add_nc_u32_e32 v5, 0x38000000, v2
                                        ; implicit-def: $vgpr2
.LBB0_722:                              ;   in Loop: Header=BB0_380 Depth=3
	s_and_not1_saveexec_b32 s22, s22
; %bb.723:                              ;   in Loop: Header=BB0_380 Depth=3
	v_bfe_i32 v2, v2, 0, 8
	s_delay_alu instid0(VALU_DEP_1) | instskip(SKIP_2) | instid1(VALU_DEP_2)
	v_cmp_lt_i16_e32 vcc_lo, -1, v2
	v_cndmask_b32_e32 v2, 0xff800000, v21, vcc_lo
	v_cmp_eq_u32_e32 vcc_lo, 0, v44
	v_cndmask_b32_e32 v5, 0x7f800001, v2, vcc_lo
; %bb.724:                              ;   in Loop: Header=BB0_380 Depth=3
	s_or_b32 exec_lo, exec_lo, s22
.LBB0_725:                              ;   in Loop: Header=BB0_380 Depth=3
	s_delay_alu instid0(SALU_CYCLE_1)
	s_or_b32 exec_lo, exec_lo, s21
.LBB0_726:                              ;   in Loop: Header=BB0_380 Depth=3
	s_delay_alu instid0(SALU_CYCLE_1) | instskip(SKIP_2) | instid1(VALU_DEP_1)
	s_or_b32 exec_lo, exec_lo, s8
	v_lshrrev_b32_e32 v2, 16, v4
	s_mov_b32 s8, exec_lo
	v_and_b32_e32 v44, 0xff, v2
	s_delay_alu instid0(VALU_DEP_1)
	v_cmpx_ne_u16_e32 0, v44
	s_cbranch_execz .LBB0_736
; %bb.727:                              ;   in Loop: Header=BB0_380 Depth=3
	v_bfrev_b32_e32 v17, 1
	s_mov_b32 s21, exec_lo
	v_cmpx_ne_u16_e32 0x80, v44
	s_cbranch_execz .LBB0_735
; %bb.728:                              ;   in Loop: Header=BB0_380 Depth=3
	v_and_b32_e32 v17, 0x7c0000, v4
	v_bfe_u32 v44, v4, 16, 2
	s_delay_alu instid0(VALU_DEP_2) | instskip(SKIP_1) | instid1(SALU_CYCLE_1)
	v_cmp_ne_u32_e32 vcc_lo, 0x7c0000, v17
                                        ; implicit-def: $vgpr17
	s_and_saveexec_b32 s22, vcc_lo
	s_xor_b32 s22, exec_lo, s22
	s_cbranch_execz .LBB0_732
; %bb.729:                              ;   in Loop: Header=BB0_380 Depth=3
	v_bfe_u32 v17, v4, 18, 5
	v_lshrrev_b32_e32 v2, 16, v4
	s_mov_b32 s23, exec_lo
	s_delay_alu instid0(VALU_DEP_2)
	v_cmpx_eq_u32_e32 0, v17
; %bb.730:                              ;   in Loop: Header=BB0_380 Depth=3
	v_clz_i32_u32_e32 v17, v44
	s_delay_alu instid0(VALU_DEP_1) | instskip(NEXT) | instid1(VALU_DEP_1)
	v_min_u32_e32 v17, 32, v17
	v_subrev_nc_u32_e32 v44, 29, v17
	s_delay_alu instid0(VALU_DEP_1) | instskip(NEXT) | instid1(VALU_DEP_1)
	v_lshlrev_b64_e32 v[44:45], v44, v[2:3]
	v_dual_sub_nc_u32 v17, 30, v17 :: v_dual_bitop2_b32 v44, 3, v44 bitop3:0x40
; %bb.731:                              ;   in Loop: Header=BB0_380 Depth=3
	s_or_b32 exec_lo, exec_lo, s23
	v_lshlrev_b32_e32 v2, 24, v2
	s_delay_alu instid0(VALU_DEP_1) | instskip(NEXT) | instid1(VALU_DEP_1)
	v_and_b32_e32 v2, 0x80000000, v2
	v_lshl_add_u32 v2, v17, 23, v2
	s_delay_alu instid0(VALU_DEP_1) | instskip(NEXT) | instid1(VALU_DEP_1)
	v_lshl_or_b32 v2, v44, 21, v2
                                        ; implicit-def: $vgpr44
	v_add_nc_u32_e32 v17, 0x38000000, v2
                                        ; implicit-def: $vgpr2
.LBB0_732:                              ;   in Loop: Header=BB0_380 Depth=3
	s_and_not1_saveexec_b32 s22, s22
; %bb.733:                              ;   in Loop: Header=BB0_380 Depth=3
	v_bfe_i32 v2, v2, 0, 8
	s_delay_alu instid0(VALU_DEP_1) | instskip(SKIP_2) | instid1(VALU_DEP_2)
	v_cmp_lt_i16_e32 vcc_lo, -1, v2
	v_cndmask_b32_e32 v2, 0xff800000, v21, vcc_lo
	v_cmp_eq_u32_e32 vcc_lo, 0, v44
	v_cndmask_b32_e32 v17, 0x7f800001, v2, vcc_lo
; %bb.734:                              ;   in Loop: Header=BB0_380 Depth=3
	s_or_b32 exec_lo, exec_lo, s22
.LBB0_735:                              ;   in Loop: Header=BB0_380 Depth=3
	s_delay_alu instid0(SALU_CYCLE_1)
	s_or_b32 exec_lo, exec_lo, s21
.LBB0_736:                              ;   in Loop: Header=BB0_380 Depth=3
	s_delay_alu instid0(SALU_CYCLE_1) | instskip(NEXT) | instid1(VALU_DEP_1)
	s_or_b32 exec_lo, exec_lo, s8
	v_add_f32_e32 v5, v5, v17
	v_dual_mov_b32 v47, v65 :: v_dual_mov_b32 v45, v65
	s_delay_alu instid0(VALU_DEP_2) | instskip(SKIP_2) | instid1(VALU_DEP_3)
	v_and_b32_e32 v46, 0x7f800000, v5
	v_and_b32_e32 v44, 0x7fffff, v5
	v_lshrrev_b32_e32 v2, 24, v5
	v_cmp_ne_u64_e32 vcc_lo, 0x7f800000, v[46:47]
                                        ; implicit-def: $vgpr46
	s_and_saveexec_b32 s8, vcc_lo
	s_delay_alu instid0(SALU_CYCLE_1)
	s_xor_b32 s21, exec_lo, s8
	s_cbranch_execz .LBB0_750
; %bb.737:                              ;   in Loop: Header=BB0_380 Depth=3
	v_and_b32_e32 v46, 0x7fffffff, v5
	v_mov_b32_e32 v47, v65
	v_and_b32_e32 v2, 0x80, v2
	s_delay_alu instid0(VALU_DEP_2) | instskip(SKIP_1) | instid1(SALU_CYCLE_1)
	v_cmp_gt_u64_e32 vcc_lo, 0x47600001, v[46:47]
                                        ; implicit-def: $vgpr46
	s_and_saveexec_b32 s8, vcc_lo
	s_xor_b32 s22, exec_lo, s8
	s_cbranch_execz .LBB0_747
; %bb.738:                              ;   in Loop: Header=BB0_380 Depth=3
	v_mov_b32_e32 v46, 0
	s_mov_b32 s23, exec_lo
	v_cmpx_ne_u32_e32 0, v5
	s_cbranch_execz .LBB0_746
; %bb.739:                              ;   in Loop: Header=BB0_380 Depth=3
	v_bfe_u32 v5, v5, 23, 8
	v_or_b32_e32 v79, 0x800000, v44
	s_delay_alu instid0(VALU_DEP_2) | instskip(SKIP_1) | instid1(VALU_DEP_2)
	v_sub_nc_u32_e32 v17, 0x71, v5
	v_cmp_gt_u32_e32 vcc_lo, 0x72, v5
	v_cndmask_b32_e32 v17, 0, v17, vcc_lo
	v_cmp_eq_u32_e32 vcc_lo, 0, v5
	s_delay_alu instid0(VALU_DEP_2) | instskip(NEXT) | instid1(VALU_DEP_1)
	v_cndmask_b32_e64 v17, v17, 0x70, vcc_lo
	v_dual_cndmask_b32 v44, v79, v44, vcc_lo :: v_dual_add_nc_u32 v46, 21, v17
	v_add_nc_u32_e32 v88, 20, v17
	s_delay_alu instid0(VALU_DEP_2) | instskip(NEXT) | instid1(VALU_DEP_2)
	v_lshlrev_b64_e64 v[46:47], v46, -1
	v_lshlrev_b64_e64 v[88:89], v88, 1
	s_delay_alu instid0(VALU_DEP_2) | instskip(SKIP_1) | instid1(VALU_DEP_4)
	v_bfi_b32 v46, v46, 0, v44
	v_lshrrev_b64 v[44:45], v17, v[44:45]
	v_bfi_b32 v47, v47, 0, 0
	s_delay_alu instid0(VALU_DEP_1) | instskip(NEXT) | instid1(VALU_DEP_3)
	v_cmp_eq_u64_e64 s8, v[46:47], v[88:89]
	v_mov_b64_e32 v[46:47], v[44:45]
	s_and_saveexec_b32 s24, s8
; %bb.740:                              ;   in Loop: Header=BB0_380 Depth=3
	v_bfe_u32 v46, v44, 21, 1
	v_mov_b32_e32 v47, v65
	s_delay_alu instid0(VALU_DEP_1) | instskip(NEXT) | instid1(VALU_DEP_1)
	v_add_nc_u64_e32 v[46:47], v[44:45], v[46:47]
	v_add_nc_u64_e32 v[46:47], -1, v[46:47]
; %bb.741:                              ;   in Loop: Header=BB0_380 Depth=3
	s_or_b32 exec_lo, exec_lo, s24
	v_add_nc_u32_e32 v5, 0xffffff81, v5
	v_lshrrev_b32_e32 v45, 23, v44
	s_mov_b32 s8, exec_lo
	s_delay_alu instid0(VALU_DEP_2) | instskip(NEXT) | instid1(VALU_DEP_1)
	v_cndmask_b32_e64 v5, v5, 0xffffff82, vcc_lo
	v_add3_u32 v17, v17, v5, v45
	v_and_b32_e32 v5, 0x1fffff, v46
	s_delay_alu instid0(VALU_DEP_2) | instskip(NEXT) | instid1(VALU_DEP_2)
	v_dual_mov_b32 v45, v65 :: v_dual_add_nc_u32 v46, 14, v17
	v_add_nc_u32_e32 v44, v5, v44
                                        ; implicit-def: $vgpr5
	s_delay_alu instid0(VALU_DEP_2)
	v_cmpx_ne_u32_e32 0, v46
	s_xor_b32 s8, exec_lo, s8
; %bb.742:                              ;   in Loop: Header=BB0_380 Depth=3
	s_delay_alu instid0(VALU_DEP_2) | instskip(SKIP_2) | instid1(VALU_DEP_2)
	v_cmp_lt_u64_e32 vcc_lo, 0xffffff, v[44:45]
	v_add_nc_u32_e32 v5, 15, v17
	v_cndmask_b32_e64 v17, 0, 1, vcc_lo
	v_cndmask_b32_e32 v5, v46, v5, vcc_lo
	s_delay_alu instid0(VALU_DEP_2)
	v_lshrrev_b64 v[44:45], v17, v[44:45]
; %bb.743:                              ;   in Loop: Header=BB0_380 Depth=3
	s_and_not1_saveexec_b32 s8, s8
; %bb.744:                              ;   in Loop: Header=BB0_380 Depth=3
	s_delay_alu instid0(VALU_DEP_1)
	v_bfe_u32 v5, v44, 23, 1
; %bb.745:                              ;   in Loop: Header=BB0_380 Depth=3
	s_or_b32 exec_lo, exec_lo, s8
	s_delay_alu instid0(VALU_DEP_2) | instskip(NEXT) | instid1(VALU_DEP_2)
	v_lshrrev_b64 v[44:45], 21, v[44:45]
	v_cmp_gt_i32_e32 vcc_lo, 32, v5
	v_min_i32_e32 v17, 31, v5
	v_cmp_eq_u32_e64 s8, 0, v5
	s_delay_alu instid0(VALU_DEP_2) | instskip(SKIP_1) | instid1(VALU_DEP_2)
	v_dual_cndmask_b32 v44, 3, v44 :: v_dual_lshlrev_b32 v17, 2, v17
	v_cndmask_b32_e32 v45, 0, v45, vcc_lo
	v_and_b32_e32 v17, 0xfc, v17
	s_delay_alu instid0(VALU_DEP_2) | instskip(NEXT) | instid1(VALU_DEP_2)
	v_cmp_eq_u64_e32 vcc_lo, 0, v[44:45]
	v_and_or_b32 v5, v44, 3, v17
	s_and_b32 s8, s8, vcc_lo
	s_delay_alu instid0(VALU_DEP_1) | instid1(SALU_CYCLE_1)
	v_cndmask_b32_e64 v5, v5, 0, s8
	s_delay_alu instid0(VALU_DEP_1)
	v_or_b32_e32 v46, v5, v2
.LBB0_746:                              ;   in Loop: Header=BB0_380 Depth=3
	s_or_b32 exec_lo, exec_lo, s23
                                        ; implicit-def: $vgpr2
.LBB0_747:                              ;   in Loop: Header=BB0_380 Depth=3
	s_and_not1_saveexec_b32 s8, s22
; %bb.748:                              ;   in Loop: Header=BB0_380 Depth=3
	v_or_b32_e32 v46, 0x7b, v2
; %bb.749:                              ;   in Loop: Header=BB0_380 Depth=3
	s_or_b32 exec_lo, exec_lo, s8
                                        ; implicit-def: $vgpr5
                                        ; implicit-def: $vgpr44_vgpr45
                                        ; implicit-def: $vgpr2
.LBB0_750:                              ;   in Loop: Header=BB0_380 Depth=3
	s_and_not1_saveexec_b32 s8, s21
	s_cbranch_execz .LBB0_756
; %bb.751:                              ;   in Loop: Header=BB0_380 Depth=3
	s_mov_b32 s21, exec_lo
                                        ; implicit-def: $vgpr46
	v_cmpx_ne_u64_e32 0, v[44:45]
	s_xor_b32 s21, exec_lo, s21
; %bb.752:                              ;   in Loop: Header=BB0_380 Depth=3
	v_or_b32_e32 v46, 0x7f, v2
                                        ; implicit-def: $vgpr5
; %bb.753:                              ;   in Loop: Header=BB0_380 Depth=3
	s_and_not1_saveexec_b32 s21, s21
; %bb.754:                              ;   in Loop: Header=BB0_380 Depth=3
	v_cmp_lt_i32_e32 vcc_lo, -1, v5
	v_cndmask_b32_e32 v46, 0xfc, v59, vcc_lo
; %bb.755:                              ;   in Loop: Header=BB0_380 Depth=3
	s_or_b32 exec_lo, exec_lo, s21
.LBB0_756:                              ;   in Loop: Header=BB0_380 Depth=3
	s_delay_alu instid0(SALU_CYCLE_1)
	s_or_b32 exec_lo, exec_lo, s8
	v_dual_mov_b32 v17, 0 :: v_dual_mov_b32 v44, 0
	s_mov_b32 s8, exec_lo
	v_cmpx_lt_u32_e32 0xffffff, v16
	s_cbranch_execz .LBB0_766
; %bb.757:                              ;   in Loop: Header=BB0_380 Depth=3
	v_lshrrev_b32_e32 v2, 24, v16
	v_bfrev_b32_e32 v44, 1
	s_mov_b32 s21, exec_lo
	s_delay_alu instid0(VALU_DEP_2)
	v_cmpx_ne_u32_e32 0x80, v2
	s_cbranch_execz .LBB0_765
; %bb.758:                              ;   in Loop: Header=BB0_380 Depth=3
	v_and_b32_e32 v44, 0x7c000000, v16
	v_bfe_u32 v5, v16, 24, 2
	s_delay_alu instid0(VALU_DEP_2) | instskip(SKIP_1) | instid1(SALU_CYCLE_1)
	v_cmp_ne_u32_e32 vcc_lo, 0x7c000000, v44
                                        ; implicit-def: $vgpr44
	s_and_saveexec_b32 s22, vcc_lo
	s_xor_b32 s22, exec_lo, s22
	s_cbranch_execz .LBB0_762
; %bb.759:                              ;   in Loop: Header=BB0_380 Depth=3
	v_bfe_u32 v44, v16, 26, 5
	s_mov_b32 s23, exec_lo
	s_delay_alu instid0(VALU_DEP_1)
	v_cmpx_eq_u32_e32 0, v44
; %bb.760:                              ;   in Loop: Header=BB0_380 Depth=3
	v_clz_i32_u32_e32 v5, v5
	s_delay_alu instid0(VALU_DEP_1) | instskip(NEXT) | instid1(VALU_DEP_1)
	v_min_u32_e32 v5, 32, v5
	v_subrev_nc_u32_e32 v44, 29, v5
	s_delay_alu instid0(VALU_DEP_1) | instskip(NEXT) | instid1(VALU_DEP_1)
	v_lshlrev_b64_e32 v[88:89], v44, v[2:3]
	v_dual_sub_nc_u32 v44, 30, v5 :: v_dual_bitop2_b32 v5, 3, v88 bitop3:0x40
; %bb.761:                              ;   in Loop: Header=BB0_380 Depth=3
	s_or_b32 exec_lo, exec_lo, s23
	v_and_b32_e32 v2, 0x80000000, v16
	s_delay_alu instid0(VALU_DEP_1) | instskip(NEXT) | instid1(VALU_DEP_1)
	v_lshl_add_u32 v2, v44, 23, v2
	v_lshl_or_b32 v2, v5, 21, v2
                                        ; implicit-def: $vgpr5
	s_delay_alu instid0(VALU_DEP_1)
	v_add_nc_u32_e32 v44, 0x38000000, v2
.LBB0_762:                              ;   in Loop: Header=BB0_380 Depth=3
	s_and_not1_saveexec_b32 s22, s22
; %bb.763:                              ;   in Loop: Header=BB0_380 Depth=3
	v_cmp_lt_i32_e32 vcc_lo, -1, v16
	v_cndmask_b32_e32 v2, 0xff800000, v21, vcc_lo
	v_cmp_eq_u32_e32 vcc_lo, 0, v5
	s_delay_alu instid0(VALU_DEP_2)
	v_cndmask_b32_e32 v44, 0x7f800001, v2, vcc_lo
; %bb.764:                              ;   in Loop: Header=BB0_380 Depth=3
	s_or_b32 exec_lo, exec_lo, s22
.LBB0_765:                              ;   in Loop: Header=BB0_380 Depth=3
	s_delay_alu instid0(SALU_CYCLE_1)
	s_or_b32 exec_lo, exec_lo, s21
.LBB0_766:                              ;   in Loop: Header=BB0_380 Depth=3
	s_delay_alu instid0(SALU_CYCLE_1) | instskip(NEXT) | instid1(SALU_CYCLE_1)
	s_or_b32 exec_lo, exec_lo, s8
	s_mov_b32 s8, exec_lo
	v_cmpx_lt_u32_e32 0xffffff, v4
	s_cbranch_execz .LBB0_776
; %bb.767:                              ;   in Loop: Header=BB0_380 Depth=3
	v_lshrrev_b32_e32 v2, 24, v4
	v_bfrev_b32_e32 v17, 1
	s_mov_b32 s21, exec_lo
	s_delay_alu instid0(VALU_DEP_2)
	v_cmpx_ne_u32_e32 0x80, v2
	s_cbranch_execz .LBB0_775
; %bb.768:                              ;   in Loop: Header=BB0_380 Depth=3
	v_and_b32_e32 v5, 0x7c000000, v4
	v_bfe_u32 v16, v4, 24, 2
	s_mov_b32 s22, exec_lo
                                        ; implicit-def: $vgpr17
	s_delay_alu instid0(VALU_DEP_2)
	v_cmpx_ne_u32_e32 0x7c000000, v5
	s_xor_b32 s22, exec_lo, s22
	s_cbranch_execz .LBB0_772
; %bb.769:                              ;   in Loop: Header=BB0_380 Depth=3
	v_bfe_u32 v5, v4, 26, 5
	s_mov_b32 s23, exec_lo
	s_delay_alu instid0(VALU_DEP_1)
	v_cmpx_eq_u32_e32 0, v5
; %bb.770:                              ;   in Loop: Header=BB0_380 Depth=3
	v_clz_i32_u32_e32 v5, v16
	s_delay_alu instid0(VALU_DEP_1) | instskip(NEXT) | instid1(VALU_DEP_1)
	v_min_u32_e32 v5, 32, v5
	v_subrev_nc_u32_e32 v16, 29, v5
	s_delay_alu instid0(VALU_DEP_1) | instskip(NEXT) | instid1(VALU_DEP_1)
	v_lshlrev_b64_e32 v[16:17], v16, v[2:3]
	v_dual_sub_nc_u32 v5, 30, v5 :: v_dual_bitop2_b32 v16, 3, v16 bitop3:0x40
; %bb.771:                              ;   in Loop: Header=BB0_380 Depth=3
	s_or_b32 exec_lo, exec_lo, s23
	v_and_b32_e32 v2, 0x80000000, v4
	s_delay_alu instid0(VALU_DEP_1) | instskip(NEXT) | instid1(VALU_DEP_1)
	v_lshl_add_u32 v2, v5, 23, v2
                                        ; implicit-def: $vgpr4_vgpr5
	v_lshl_or_b32 v2, v16, 21, v2
                                        ; implicit-def: $vgpr16
	s_delay_alu instid0(VALU_DEP_1)
	v_add_nc_u32_e32 v17, 0x38000000, v2
.LBB0_772:                              ;   in Loop: Header=BB0_380 Depth=3
	s_and_not1_saveexec_b32 s22, s22
; %bb.773:                              ;   in Loop: Header=BB0_380 Depth=3
	v_cmp_lt_i32_e32 vcc_lo, -1, v4
	v_cndmask_b32_e32 v2, 0xff800000, v21, vcc_lo
	v_cmp_eq_u32_e32 vcc_lo, 0, v16
	s_delay_alu instid0(VALU_DEP_2)
	v_cndmask_b32_e32 v17, 0x7f800001, v2, vcc_lo
; %bb.774:                              ;   in Loop: Header=BB0_380 Depth=3
	s_or_b32 exec_lo, exec_lo, s22
.LBB0_775:                              ;   in Loop: Header=BB0_380 Depth=3
	s_delay_alu instid0(SALU_CYCLE_1)
	s_or_b32 exec_lo, exec_lo, s21
.LBB0_776:                              ;   in Loop: Header=BB0_380 Depth=3
	s_delay_alu instid0(SALU_CYCLE_1) | instskip(NEXT) | instid1(VALU_DEP_1)
	s_or_b32 exec_lo, exec_lo, s8
	v_dual_add_f32 v16, v44, v17 :: v_dual_mov_b32 v45, v65
	v_mov_b32_e32 v5, v65
                                        ; implicit-def: $vgpr47
	s_mov_b32 s8, exec_lo
	s_delay_alu instid0(VALU_DEP_2) | instskip(SKIP_2) | instid1(VALU_DEP_3)
	v_and_b32_e32 v44, 0x7f800000, v16
	v_and_b32_e32 v4, 0x7fffff, v16
	v_lshrrev_b32_e32 v2, 24, v16
	v_cmpx_ne_u64_e32 0x7f800000, v[44:45]
	s_xor_b32 s21, exec_lo, s8
	s_cbranch_execz .LBB0_790
; %bb.777:                              ;   in Loop: Header=BB0_380 Depth=3
	v_and_b32_e32 v44, 0x7fffffff, v16
	v_mov_b32_e32 v45, v65
	v_and_b32_e32 v2, 0x80, v2
                                        ; implicit-def: $vgpr47
	s_mov_b32 s8, exec_lo
	s_delay_alu instid0(VALU_DEP_2)
	v_cmpx_gt_u64_e32 0x47600001, v[44:45]
	s_xor_b32 s22, exec_lo, s8
	s_cbranch_execz .LBB0_787
; %bb.778:                              ;   in Loop: Header=BB0_380 Depth=3
	v_mov_b32_e32 v47, 0
	s_mov_b32 s23, exec_lo
	v_cmpx_ne_u32_e32 0, v16
	s_cbranch_execz .LBB0_786
; %bb.779:                              ;   in Loop: Header=BB0_380 Depth=3
	v_bfe_u32 v44, v16, 23, 8
	v_or_b32_e32 v47, 0x800000, v4
	s_delay_alu instid0(VALU_DEP_2) | instskip(SKIP_1) | instid1(VALU_DEP_2)
	v_sub_nc_u32_e32 v16, 0x71, v44
	v_cmp_gt_u32_e32 vcc_lo, 0x72, v44
	v_cndmask_b32_e32 v16, 0, v16, vcc_lo
	v_cmp_eq_u32_e32 vcc_lo, 0, v44
	s_delay_alu instid0(VALU_DEP_2) | instskip(NEXT) | instid1(VALU_DEP_1)
	v_cndmask_b32_e64 v45, v16, 0x70, vcc_lo
	v_dual_cndmask_b32 v4, v47, v4, vcc_lo :: v_dual_add_nc_u32 v16, 21, v45
	v_add_nc_u32_e32 v79, 20, v45
	s_delay_alu instid0(VALU_DEP_2) | instskip(NEXT) | instid1(VALU_DEP_2)
	v_lshlrev_b64_e64 v[16:17], v16, -1
	v_lshlrev_b64_e64 v[88:89], v79, 1
	s_delay_alu instid0(VALU_DEP_2) | instskip(SKIP_1) | instid1(VALU_DEP_4)
	v_bfi_b32 v16, v16, 0, v4
	v_lshrrev_b64 v[4:5], v45, v[4:5]
	v_bfi_b32 v17, v17, 0, 0
	s_delay_alu instid0(VALU_DEP_1) | instskip(NEXT) | instid1(VALU_DEP_3)
	v_cmp_eq_u64_e64 s8, v[16:17], v[88:89]
	v_mov_b64_e32 v[16:17], v[4:5]
	s_and_saveexec_b32 s24, s8
; %bb.780:                              ;   in Loop: Header=BB0_380 Depth=3
	v_bfe_u32 v16, v4, 21, 1
	v_mov_b32_e32 v17, v65
	s_delay_alu instid0(VALU_DEP_1) | instskip(NEXT) | instid1(VALU_DEP_1)
	v_add_nc_u64_e32 v[16:17], v[4:5], v[16:17]
	v_add_nc_u64_e32 v[16:17], -1, v[16:17]
; %bb.781:                              ;   in Loop: Header=BB0_380 Depth=3
	s_or_b32 exec_lo, exec_lo, s24
	v_add_nc_u32_e32 v5, 0xffffff81, v44
	v_lshrrev_b32_e32 v17, 23, v4
	s_mov_b32 s8, exec_lo
	s_delay_alu instid0(VALU_DEP_2) | instskip(NEXT) | instid1(VALU_DEP_1)
	v_cndmask_b32_e64 v5, v5, 0xffffff82, vcc_lo
	v_add3_u32 v17, v45, v5, v17
	v_and_b32_e32 v5, 0x1fffff, v16
                                        ; implicit-def: $vgpr16
	s_delay_alu instid0(VALU_DEP_1) | instskip(SKIP_1) | instid1(VALU_DEP_2)
	v_dual_add_nc_u32 v44, 14, v17 :: v_dual_add_nc_u32 v4, v5, v4
	v_mov_b32_e32 v5, v65
	v_cmpx_ne_u32_e32 0, v44
	s_xor_b32 s8, exec_lo, s8
; %bb.782:                              ;   in Loop: Header=BB0_380 Depth=3
	s_delay_alu instid0(VALU_DEP_2) | instskip(SKIP_2) | instid1(VALU_DEP_2)
	v_cmp_lt_u64_e32 vcc_lo, 0xffffff, v[4:5]
	v_add_nc_u32_e32 v16, 15, v17
	v_cndmask_b32_e64 v17, 0, 1, vcc_lo
	v_cndmask_b32_e32 v16, v44, v16, vcc_lo
	s_delay_alu instid0(VALU_DEP_2)
	v_lshrrev_b64 v[4:5], v17, v[4:5]
; %bb.783:                              ;   in Loop: Header=BB0_380 Depth=3
	s_and_not1_saveexec_b32 s8, s8
; %bb.784:                              ;   in Loop: Header=BB0_380 Depth=3
	s_delay_alu instid0(VALU_DEP_1)
	v_bfe_u32 v16, v4, 23, 1
; %bb.785:                              ;   in Loop: Header=BB0_380 Depth=3
	s_or_b32 exec_lo, exec_lo, s8
	s_delay_alu instid0(VALU_DEP_2) | instskip(NEXT) | instid1(VALU_DEP_2)
	v_lshrrev_b64 v[4:5], 21, v[4:5]
	v_cmp_gt_i32_e32 vcc_lo, 32, v16
	v_min_i32_e32 v17, 31, v16
	v_cmp_eq_u32_e64 s8, 0, v16
	s_delay_alu instid0(VALU_DEP_4) | instskip(NEXT) | instid1(VALU_DEP_3)
	v_cndmask_b32_e32 v5, 0, v5, vcc_lo
	v_dual_cndmask_b32 v4, 3, v4 :: v_dual_lshlrev_b32 v17, 2, v17
	s_delay_alu instid0(VALU_DEP_1) | instskip(NEXT) | instid1(VALU_DEP_2)
	v_and_b32_e32 v17, 0xfc, v17
	v_cmp_eq_u64_e32 vcc_lo, 0, v[4:5]
	s_delay_alu instid0(VALU_DEP_2)
	v_and_or_b32 v4, v4, 3, v17
	s_and_b32 s8, s8, vcc_lo
	s_delay_alu instid0(VALU_DEP_1) | instid1(SALU_CYCLE_1)
	v_cndmask_b32_e64 v4, v4, 0, s8
	s_delay_alu instid0(VALU_DEP_1)
	v_or_b32_e32 v47, v4, v2
.LBB0_786:                              ;   in Loop: Header=BB0_380 Depth=3
	s_or_b32 exec_lo, exec_lo, s23
                                        ; implicit-def: $vgpr2
.LBB0_787:                              ;   in Loop: Header=BB0_380 Depth=3
	s_and_not1_saveexec_b32 s8, s22
; %bb.788:                              ;   in Loop: Header=BB0_380 Depth=3
	v_or_b32_e32 v47, 0x7b, v2
; %bb.789:                              ;   in Loop: Header=BB0_380 Depth=3
	s_or_b32 exec_lo, exec_lo, s8
                                        ; implicit-def: $vgpr16
                                        ; implicit-def: $vgpr4_vgpr5
                                        ; implicit-def: $vgpr2
.LBB0_790:                              ;   in Loop: Header=BB0_380 Depth=3
	s_and_not1_saveexec_b32 s8, s21
	s_cbranch_execz .LBB0_796
; %bb.791:                              ;   in Loop: Header=BB0_380 Depth=3
	s_mov_b32 s21, exec_lo
                                        ; implicit-def: $vgpr47
	v_cmpx_ne_u64_e32 0, v[4:5]
	s_xor_b32 s21, exec_lo, s21
; %bb.792:                              ;   in Loop: Header=BB0_380 Depth=3
	v_or_b32_e32 v47, 0x7f, v2
                                        ; implicit-def: $vgpr16
; %bb.793:                              ;   in Loop: Header=BB0_380 Depth=3
	s_and_not1_saveexec_b32 s21, s21
; %bb.794:                              ;   in Loop: Header=BB0_380 Depth=3
	v_cmp_lt_i32_e32 vcc_lo, -1, v16
	v_cndmask_b32_e32 v47, 0xfc, v59, vcc_lo
; %bb.795:                              ;   in Loop: Header=BB0_380 Depth=3
	s_or_b32 exec_lo, exec_lo, s21
.LBB0_796:                              ;   in Loop: Header=BB0_380 Depth=3
	s_delay_alu instid0(SALU_CYCLE_1) | instskip(SKIP_3) | instid1(VALU_DEP_2)
	s_or_b32 exec_lo, exec_lo, s8
	v_and_b32_e32 v2, 0xff, v18
	v_dual_mov_b32 v16, 0 :: v_dual_mov_b32 v17, 0
	s_mov_b32 s8, exec_lo
	v_cmpx_ne_u16_e32 0, v2
	s_cbranch_execz .LBB0_806
; %bb.797:                              ;   in Loop: Header=BB0_380 Depth=3
	v_bfe_i32 v4, v18, 0, 8
	v_bfrev_b32_e32 v17, 1
	s_mov_b32 s21, exec_lo
	s_delay_alu instid0(VALU_DEP_2)
	v_cmpx_ne_u16_e32 0xff80, v4
	s_cbranch_execz .LBB0_805
; %bb.798:                              ;   in Loop: Header=BB0_380 Depth=3
	v_and_b32_e32 v5, 0x7c, v18
	v_and_b32_e32 v2, 3, v18
	s_mov_b32 s22, exec_lo
                                        ; implicit-def: $vgpr17
	s_delay_alu instid0(VALU_DEP_2)
	v_cmpx_ne_u32_e32 0x7c, v5
	s_xor_b32 s22, exec_lo, s22
	s_cbranch_execz .LBB0_802
; %bb.799:                              ;   in Loop: Header=BB0_380 Depth=3
	v_bfe_u32 v4, v18, 2, 5
	s_mov_b32 s23, exec_lo
	s_delay_alu instid0(VALU_DEP_1)
	v_cmpx_eq_u32_e32 0, v4
; %bb.800:                              ;   in Loop: Header=BB0_380 Depth=3
	v_clz_i32_u32_e32 v2, v2
	s_delay_alu instid0(VALU_DEP_1) | instskip(NEXT) | instid1(VALU_DEP_1)
	v_min_u32_e32 v2, 32, v2
	v_subrev_nc_u32_e32 v4, 29, v2
	s_delay_alu instid0(VALU_DEP_1) | instskip(NEXT) | instid1(VALU_DEP_1)
	v_lshlrev_b64_e32 v[44:45], v4, v[18:19]
	v_dual_sub_nc_u32 v4, 30, v2 :: v_dual_bitop2_b32 v2, 3, v44 bitop3:0x40
; %bb.801:                              ;   in Loop: Header=BB0_380 Depth=3
	s_or_b32 exec_lo, exec_lo, s23
	v_lshlrev_b32_e32 v5, 24, v18
	s_delay_alu instid0(VALU_DEP_1) | instskip(NEXT) | instid1(VALU_DEP_1)
	v_and_b32_e32 v5, 0x80000000, v5
	v_lshl_add_u32 v4, v4, 23, v5
	s_delay_alu instid0(VALU_DEP_1) | instskip(NEXT) | instid1(VALU_DEP_1)
	v_lshl_or_b32 v2, v2, 21, v4
                                        ; implicit-def: $vgpr4
	v_add_nc_u32_e32 v17, 0x38000000, v2
                                        ; implicit-def: $vgpr2
.LBB0_802:                              ;   in Loop: Header=BB0_380 Depth=3
	s_and_not1_saveexec_b32 s22, s22
; %bb.803:                              ;   in Loop: Header=BB0_380 Depth=3
	v_cmp_lt_i16_e32 vcc_lo, -1, v4
	v_cndmask_b32_e32 v4, 0xff800000, v21, vcc_lo
	v_cmp_eq_u32_e32 vcc_lo, 0, v2
	s_delay_alu instid0(VALU_DEP_2)
	v_cndmask_b32_e32 v17, 0x7f800001, v4, vcc_lo
; %bb.804:                              ;   in Loop: Header=BB0_380 Depth=3
	s_or_b32 exec_lo, exec_lo, s22
.LBB0_805:                              ;   in Loop: Header=BB0_380 Depth=3
	s_delay_alu instid0(SALU_CYCLE_1)
	s_or_b32 exec_lo, exec_lo, s21
.LBB0_806:                              ;   in Loop: Header=BB0_380 Depth=3
	s_delay_alu instid0(SALU_CYCLE_1) | instskip(SKIP_4) | instid1(VALU_DEP_2)
	s_or_b32 exec_lo, exec_lo, s8
	v_dual_lshlrev_b32 v4, 24, v78 :: v_dual_lshlrev_b32 v19, 16, v77
	v_lshl_or_b32 v2, v76, 8, v74
	v_mov_b32_e32 v5, v65
	s_mov_b32 s8, exec_lo
	v_or3_b32 v4, v19, v4, v2
	v_cmpx_ne_u32_e32 0, v74
	s_cbranch_execz .LBB0_816
; %bb.807:                              ;   in Loop: Header=BB0_380 Depth=3
	v_bfrev_b32_e32 v16, 1
	s_mov_b32 s21, exec_lo
	v_cmpx_ne_u32_e32 0x80, v74
	s_cbranch_execz .LBB0_815
; %bb.808:                              ;   in Loop: Header=BB0_380 Depth=3
	v_and_b32_e32 v16, 0x7c, v74
	v_and_b32_e32 v19, 3, v74
	s_delay_alu instid0(VALU_DEP_2) | instskip(SKIP_1) | instid1(SALU_CYCLE_1)
	v_cmp_ne_u32_e32 vcc_lo, 0x7c, v16
                                        ; implicit-def: $vgpr16
	s_and_saveexec_b32 s22, vcc_lo
	s_xor_b32 s22, exec_lo, s22
	s_cbranch_execz .LBB0_812
; %bb.809:                              ;   in Loop: Header=BB0_380 Depth=3
	v_bfe_u32 v16, v74, 2, 5
	s_mov_b32 s23, exec_lo
	s_delay_alu instid0(VALU_DEP_1)
	v_cmpx_eq_u32_e32 0, v16
; %bb.810:                              ;   in Loop: Header=BB0_380 Depth=3
	v_clz_i32_u32_e32 v16, v19
	s_delay_alu instid0(VALU_DEP_1) | instskip(NEXT) | instid1(VALU_DEP_1)
	v_min_u32_e32 v16, 32, v16
	v_subrev_nc_u32_e32 v19, 29, v16
	v_sub_nc_u32_e32 v16, 30, v16
	s_delay_alu instid0(VALU_DEP_2) | instskip(NEXT) | instid1(VALU_DEP_1)
	v_lshlrev_b64_e32 v[44:45], v19, v[4:5]
	v_and_b32_e32 v19, 3, v44
; %bb.811:                              ;   in Loop: Header=BB0_380 Depth=3
	s_or_b32 exec_lo, exec_lo, s23
	v_lshlrev_b32_e32 v5, 24, v74
                                        ; implicit-def: $vgpr74
	s_delay_alu instid0(VALU_DEP_1) | instskip(NEXT) | instid1(VALU_DEP_1)
	v_and_b32_e32 v5, 0x80000000, v5
	v_lshl_add_u32 v5, v16, 23, v5
	s_delay_alu instid0(VALU_DEP_1) | instskip(NEXT) | instid1(VALU_DEP_1)
	v_lshl_or_b32 v5, v19, 21, v5
                                        ; implicit-def: $vgpr19
	v_add_nc_u32_e32 v16, 0x38000000, v5
.LBB0_812:                              ;   in Loop: Header=BB0_380 Depth=3
	s_and_not1_saveexec_b32 s22, s22
; %bb.813:                              ;   in Loop: Header=BB0_380 Depth=3
	v_and_b32_e32 v5, 0x80, v74
	s_delay_alu instid0(VALU_DEP_1) | instskip(SKIP_2) | instid1(VALU_DEP_2)
	v_cmp_eq_u32_e32 vcc_lo, 0, v5
	v_cndmask_b32_e32 v5, 0xff800000, v21, vcc_lo
	v_cmp_eq_u32_e32 vcc_lo, 0, v19
	v_cndmask_b32_e32 v16, 0x7f800001, v5, vcc_lo
; %bb.814:                              ;   in Loop: Header=BB0_380 Depth=3
	s_or_b32 exec_lo, exec_lo, s22
.LBB0_815:                              ;   in Loop: Header=BB0_380 Depth=3
	s_delay_alu instid0(SALU_CYCLE_1)
	s_or_b32 exec_lo, exec_lo, s21
.LBB0_816:                              ;   in Loop: Header=BB0_380 Depth=3
	s_delay_alu instid0(SALU_CYCLE_1) | instskip(NEXT) | instid1(VALU_DEP_1)
	s_or_b32 exec_lo, exec_lo, s8
	v_add_f32_e32 v44, v17, v16
	v_dual_mov_b32 v77, v65 :: v_dual_mov_b32 v17, v65
                                        ; implicit-def: $vgpr19
	s_mov_b32 s8, exec_lo
	s_delay_alu instid0(VALU_DEP_2) | instskip(SKIP_2) | instid1(VALU_DEP_3)
	v_and_b32_e32 v76, 0x7f800000, v44
	v_and_b32_e32 v16, 0x7fffff, v44
	v_lshrrev_b32_e32 v5, 24, v44
	v_cmpx_ne_u64_e32 0x7f800000, v[76:77]
	s_xor_b32 s21, exec_lo, s8
	s_cbranch_execz .LBB0_830
; %bb.817:                              ;   in Loop: Header=BB0_380 Depth=3
	v_and_b32_e32 v76, 0x7fffffff, v44
	v_mov_b32_e32 v77, v65
	v_and_b32_e32 v5, 0x80, v5
                                        ; implicit-def: $vgpr19
	s_mov_b32 s8, exec_lo
	s_delay_alu instid0(VALU_DEP_2)
	v_cmpx_gt_u64_e32 0x47600001, v[76:77]
	s_xor_b32 s22, exec_lo, s8
	s_cbranch_execz .LBB0_827
; %bb.818:                              ;   in Loop: Header=BB0_380 Depth=3
	v_mov_b32_e32 v19, 0
	s_mov_b32 s23, exec_lo
	v_cmpx_ne_u32_e32 0, v44
	s_cbranch_execz .LBB0_826
; %bb.819:                              ;   in Loop: Header=BB0_380 Depth=3
	v_bfe_u32 v19, v44, 23, 8
	v_or_b32_e32 v76, 0x800000, v16
	s_delay_alu instid0(VALU_DEP_2) | instskip(SKIP_1) | instid1(VALU_DEP_2)
	v_sub_nc_u32_e32 v44, 0x71, v19
	v_cmp_gt_u32_e32 vcc_lo, 0x72, v19
	v_cndmask_b32_e32 v44, 0, v44, vcc_lo
	v_cmp_eq_u32_e32 vcc_lo, 0, v19
	s_delay_alu instid0(VALU_DEP_2) | instskip(NEXT) | instid1(VALU_DEP_1)
	v_cndmask_b32_e64 v74, v44, 0x70, vcc_lo
	v_dual_cndmask_b32 v16, v76, v16, vcc_lo :: v_dual_add_nc_u32 v44, 21, v74
	v_add_nc_u32_e32 v77, 20, v74
	s_delay_alu instid0(VALU_DEP_2) | instskip(NEXT) | instid1(VALU_DEP_2)
	v_lshlrev_b64_e64 v[44:45], v44, -1
	v_lshlrev_b64_e64 v[76:77], v77, 1
	s_delay_alu instid0(VALU_DEP_2) | instskip(SKIP_1) | instid1(VALU_DEP_4)
	v_bfi_b32 v44, v44, 0, v16
	v_lshrrev_b64 v[16:17], v74, v[16:17]
	v_bfi_b32 v45, v45, 0, 0
	s_delay_alu instid0(VALU_DEP_1) | instskip(NEXT) | instid1(VALU_DEP_3)
	v_cmp_eq_u64_e64 s8, v[44:45], v[76:77]
	v_mov_b64_e32 v[44:45], v[16:17]
	s_and_saveexec_b32 s24, s8
; %bb.820:                              ;   in Loop: Header=BB0_380 Depth=3
	v_bfe_u32 v44, v16, 21, 1
	v_mov_b32_e32 v45, v65
	s_delay_alu instid0(VALU_DEP_1) | instskip(NEXT) | instid1(VALU_DEP_1)
	v_add_nc_u64_e32 v[44:45], v[16:17], v[44:45]
	v_add_nc_u64_e32 v[44:45], -1, v[44:45]
; %bb.821:                              ;   in Loop: Header=BB0_380 Depth=3
	s_or_b32 exec_lo, exec_lo, s24
	v_add_nc_u32_e32 v17, 0xffffff81, v19
	v_lshrrev_b32_e32 v19, 23, v16
	s_mov_b32 s8, exec_lo
	s_delay_alu instid0(VALU_DEP_2) | instskip(NEXT) | instid1(VALU_DEP_1)
	v_cndmask_b32_e64 v17, v17, 0xffffff82, vcc_lo
	v_add3_u32 v45, v74, v17, v19
	v_and_b32_e32 v17, 0x1fffff, v44
                                        ; implicit-def: $vgpr19
	s_delay_alu instid0(VALU_DEP_1) | instskip(SKIP_1) | instid1(VALU_DEP_2)
	v_dual_add_nc_u32 v44, 14, v45 :: v_dual_add_nc_u32 v16, v17, v16
	v_mov_b32_e32 v17, v65
	v_cmpx_ne_u32_e32 0, v44
	s_xor_b32 s8, exec_lo, s8
; %bb.822:                              ;   in Loop: Header=BB0_380 Depth=3
	s_delay_alu instid0(VALU_DEP_2) | instskip(SKIP_1) | instid1(VALU_DEP_1)
	v_cmp_lt_u64_e32 vcc_lo, 0xffffff, v[16:17]
	v_add_nc_u32_e32 v19, 15, v45
	v_cndmask_b32_e32 v19, v44, v19, vcc_lo
	v_cndmask_b32_e64 v44, 0, 1, vcc_lo
	s_delay_alu instid0(VALU_DEP_1)
	v_lshrrev_b64 v[16:17], v44, v[16:17]
; %bb.823:                              ;   in Loop: Header=BB0_380 Depth=3
	s_and_not1_saveexec_b32 s8, s8
; %bb.824:                              ;   in Loop: Header=BB0_380 Depth=3
	s_delay_alu instid0(VALU_DEP_1)
	v_bfe_u32 v19, v16, 23, 1
; %bb.825:                              ;   in Loop: Header=BB0_380 Depth=3
	s_or_b32 exec_lo, exec_lo, s8
	s_delay_alu instid0(VALU_DEP_2) | instskip(NEXT) | instid1(VALU_DEP_2)
	v_lshrrev_b64 v[16:17], 21, v[16:17]
	v_cmp_gt_i32_e32 vcc_lo, 32, v19
	v_min_i32_e32 v44, 31, v19
	v_cmp_eq_u32_e64 s8, 0, v19
	s_delay_alu instid0(VALU_DEP_2) | instskip(SKIP_1) | instid1(VALU_DEP_2)
	v_dual_cndmask_b32 v17, 0, v17 :: v_dual_lshlrev_b32 v44, 2, v44
	v_cndmask_b32_e32 v16, 3, v16, vcc_lo
	v_and_b32_e32 v44, 0xfc, v44
	s_delay_alu instid0(VALU_DEP_2) | instskip(NEXT) | instid1(VALU_DEP_2)
	v_cmp_eq_u64_e32 vcc_lo, 0, v[16:17]
	v_and_or_b32 v16, v16, 3, v44
	s_and_b32 s8, s8, vcc_lo
	s_delay_alu instid0(VALU_DEP_1) | instid1(SALU_CYCLE_1)
	v_cndmask_b32_e64 v16, v16, 0, s8
	s_delay_alu instid0(VALU_DEP_1)
	v_or_b32_e32 v19, v16, v5
.LBB0_826:                              ;   in Loop: Header=BB0_380 Depth=3
	s_or_b32 exec_lo, exec_lo, s23
                                        ; implicit-def: $vgpr5
.LBB0_827:                              ;   in Loop: Header=BB0_380 Depth=3
	s_and_not1_saveexec_b32 s8, s22
; %bb.828:                              ;   in Loop: Header=BB0_380 Depth=3
	v_or_b32_e32 v19, 0x7b, v5
; %bb.829:                              ;   in Loop: Header=BB0_380 Depth=3
	s_or_b32 exec_lo, exec_lo, s8
                                        ; implicit-def: $vgpr44
                                        ; implicit-def: $vgpr16_vgpr17
                                        ; implicit-def: $vgpr5
.LBB0_830:                              ;   in Loop: Header=BB0_380 Depth=3
	s_and_not1_saveexec_b32 s8, s21
	s_cbranch_execz .LBB0_836
; %bb.831:                              ;   in Loop: Header=BB0_380 Depth=3
	s_mov_b32 s21, exec_lo
                                        ; implicit-def: $vgpr19
	v_cmpx_ne_u64_e32 0, v[16:17]
	s_xor_b32 s21, exec_lo, s21
; %bb.832:                              ;   in Loop: Header=BB0_380 Depth=3
	v_or_b32_e32 v19, 0x7f, v5
                                        ; implicit-def: $vgpr44
; %bb.833:                              ;   in Loop: Header=BB0_380 Depth=3
	s_and_not1_saveexec_b32 s21, s21
; %bb.834:                              ;   in Loop: Header=BB0_380 Depth=3
	v_cmp_lt_i32_e32 vcc_lo, -1, v44
	v_cndmask_b32_e32 v19, 0xfc, v59, vcc_lo
; %bb.835:                              ;   in Loop: Header=BB0_380 Depth=3
	s_or_b32 exec_lo, exec_lo, s21
.LBB0_836:                              ;   in Loop: Header=BB0_380 Depth=3
	s_delay_alu instid0(SALU_CYCLE_1) | instskip(SKIP_3) | instid1(VALU_DEP_2)
	s_or_b32 exec_lo, exec_lo, s8
	v_lshrrev_b16 v16, 8, v18
	v_dual_mov_b32 v5, 0 :: v_dual_mov_b32 v44, 0
	s_mov_b32 s8, exec_lo
	v_cmpx_ne_u16_e32 0, v16
	s_cbranch_execz .LBB0_846
; %bb.837:                              ;   in Loop: Header=BB0_380 Depth=3
	v_bfrev_b32_e32 v44, 1
	s_mov_b32 s21, exec_lo
	v_cmpx_ne_u16_e32 0x80, v16
	s_cbranch_execz .LBB0_845
; %bb.838:                              ;   in Loop: Header=BB0_380 Depth=3
	v_and_b32_e32 v45, 0xffff, v16
	s_delay_alu instid0(VALU_DEP_1) | instskip(SKIP_1) | instid1(VALU_DEP_2)
	v_and_b32_e32 v44, 0x7c, v45
	v_and_b32_e32 v17, 3, v45
	v_cmp_ne_u32_e32 vcc_lo, 0x7c, v44
                                        ; implicit-def: $vgpr44
	s_and_saveexec_b32 s22, vcc_lo
	s_delay_alu instid0(SALU_CYCLE_1)
	s_xor_b32 s22, exec_lo, s22
	s_cbranch_execz .LBB0_842
; %bb.839:                              ;   in Loop: Header=BB0_380 Depth=3
	v_bfe_u32 v44, v45, 2, 5
	s_mov_b32 s23, exec_lo
	s_delay_alu instid0(VALU_DEP_1)
	v_cmpx_eq_u32_e32 0, v44
	s_cbranch_execz .LBB0_841
; %bb.840:                              ;   in Loop: Header=BB0_380 Depth=3
	v_clz_i32_u32_e32 v17, v17
	s_delay_alu instid0(VALU_DEP_1) | instskip(SKIP_1) | instid1(VALU_DEP_2)
	v_min_u32_e32 v44, 32, v17
	v_mov_b32_e32 v17, v65
	v_subrev_nc_u32_e32 v45, 29, v44
	v_sub_nc_u32_e32 v44, 30, v44
	s_delay_alu instid0(VALU_DEP_2) | instskip(NEXT) | instid1(VALU_DEP_1)
	v_lshlrev_b64_e32 v[16:17], v45, v[16:17]
	v_and_b32_e32 v17, 3, v16
.LBB0_841:                              ;   in Loop: Header=BB0_380 Depth=3
	s_or_b32 exec_lo, exec_lo, s23
	v_lshlrev_b32_e32 v16, 16, v18
	s_delay_alu instid0(VALU_DEP_1) | instskip(NEXT) | instid1(VALU_DEP_1)
	v_and_b32_e32 v16, 0x80000000, v16
	v_lshl_add_u32 v16, v44, 23, v16
	s_delay_alu instid0(VALU_DEP_1) | instskip(NEXT) | instid1(VALU_DEP_1)
	v_lshl_or_b32 v16, v17, 21, v16
                                        ; implicit-def: $vgpr17
	v_add_nc_u32_e32 v44, 0x38000000, v16
.LBB0_842:                              ;   in Loop: Header=BB0_380 Depth=3
	s_and_not1_saveexec_b32 s22, s22
; %bb.843:                              ;   in Loop: Header=BB0_380 Depth=3
	v_cmp_lt_i16_e32 vcc_lo, -1, v18
	v_cndmask_b32_e32 v16, 0xff800000, v21, vcc_lo
	v_cmp_eq_u32_e32 vcc_lo, 0, v17
	s_delay_alu instid0(VALU_DEP_2)
	v_cndmask_b32_e32 v44, 0x7f800001, v16, vcc_lo
; %bb.844:                              ;   in Loop: Header=BB0_380 Depth=3
	s_or_b32 exec_lo, exec_lo, s22
.LBB0_845:                              ;   in Loop: Header=BB0_380 Depth=3
	s_delay_alu instid0(SALU_CYCLE_1)
	s_or_b32 exec_lo, exec_lo, s21
.LBB0_846:                              ;   in Loop: Header=BB0_380 Depth=3
	s_delay_alu instid0(SALU_CYCLE_1) | instskip(SKIP_2) | instid1(VALU_DEP_1)
	s_or_b32 exec_lo, exec_lo, s8
	v_lshrrev_b16 v16, 8, v2
	s_mov_b32 s8, exec_lo
	v_cmpx_ne_u16_e32 0, v16
	s_cbranch_execz .LBB0_856
; %bb.847:                              ;   in Loop: Header=BB0_380 Depth=3
	v_bfrev_b32_e32 v5, 1
	s_mov_b32 s21, exec_lo
	v_cmpx_ne_u16_e32 0x80, v16
	s_cbranch_execz .LBB0_855
; %bb.848:                              ;   in Loop: Header=BB0_380 Depth=3
	v_and_b32_e32 v45, 0xffff, v16
	s_delay_alu instid0(VALU_DEP_1) | instskip(SKIP_1) | instid1(VALU_DEP_2)
	v_and_b32_e32 v5, 0x7c, v45
	v_and_b32_e32 v17, 3, v45
	v_cmp_ne_u32_e32 vcc_lo, 0x7c, v5
                                        ; implicit-def: $vgpr5
	s_and_saveexec_b32 s22, vcc_lo
	s_delay_alu instid0(SALU_CYCLE_1)
	s_xor_b32 s22, exec_lo, s22
	s_cbranch_execz .LBB0_852
; %bb.849:                              ;   in Loop: Header=BB0_380 Depth=3
	v_bfe_u32 v5, v45, 2, 5
	s_mov_b32 s23, exec_lo
	s_delay_alu instid0(VALU_DEP_1)
	v_cmpx_eq_u32_e32 0, v5
	s_cbranch_execz .LBB0_851
; %bb.850:                              ;   in Loop: Header=BB0_380 Depth=3
	v_clz_i32_u32_e32 v5, v17
	s_delay_alu instid0(VALU_DEP_1) | instskip(SKIP_1) | instid1(VALU_DEP_2)
	v_min_u32_e32 v5, 32, v5
	v_mov_b32_e32 v17, v65
	v_subrev_nc_u32_e32 v45, 29, v5
	v_sub_nc_u32_e32 v5, 30, v5
	s_delay_alu instid0(VALU_DEP_2) | instskip(NEXT) | instid1(VALU_DEP_1)
	v_lshlrev_b64_e32 v[16:17], v45, v[16:17]
	v_and_b32_e32 v17, 3, v16
.LBB0_851:                              ;   in Loop: Header=BB0_380 Depth=3
	s_or_b32 exec_lo, exec_lo, s23
	v_lshlrev_b32_e32 v2, 16, v2
	s_delay_alu instid0(VALU_DEP_1) | instskip(NEXT) | instid1(VALU_DEP_1)
	v_and_b32_e32 v2, 0x80000000, v2
	v_lshl_add_u32 v2, v5, 23, v2
	s_delay_alu instid0(VALU_DEP_1) | instskip(NEXT) | instid1(VALU_DEP_1)
	v_lshl_or_b32 v2, v17, 21, v2
                                        ; implicit-def: $vgpr17
	v_add_nc_u32_e32 v5, 0x38000000, v2
                                        ; implicit-def: $vgpr2
.LBB0_852:                              ;   in Loop: Header=BB0_380 Depth=3
	s_and_not1_saveexec_b32 s22, s22
; %bb.853:                              ;   in Loop: Header=BB0_380 Depth=3
	v_cmp_lt_i16_e32 vcc_lo, -1, v2
	v_cndmask_b32_e32 v2, 0xff800000, v21, vcc_lo
	v_cmp_eq_u32_e32 vcc_lo, 0, v17
	s_delay_alu instid0(VALU_DEP_2)
	v_cndmask_b32_e32 v5, 0x7f800001, v2, vcc_lo
; %bb.854:                              ;   in Loop: Header=BB0_380 Depth=3
	s_or_b32 exec_lo, exec_lo, s22
.LBB0_855:                              ;   in Loop: Header=BB0_380 Depth=3
	s_delay_alu instid0(SALU_CYCLE_1)
	s_or_b32 exec_lo, exec_lo, s21
.LBB0_856:                              ;   in Loop: Header=BB0_380 Depth=3
	s_delay_alu instid0(SALU_CYCLE_1) | instskip(NEXT) | instid1(VALU_DEP_1)
	s_or_b32 exec_lo, exec_lo, s8
	v_dual_add_f32 v5, v44, v5 :: v_dual_mov_b32 v45, v65
	v_mov_b32_e32 v17, v65
                                        ; implicit-def: $vgpr74
	s_mov_b32 s8, exec_lo
	s_delay_alu instid0(VALU_DEP_2) | instskip(SKIP_2) | instid1(VALU_DEP_3)
	v_and_b32_e32 v44, 0x7f800000, v5
	v_and_b32_e32 v16, 0x7fffff, v5
	v_lshrrev_b32_e32 v2, 24, v5
	v_cmpx_ne_u64_e32 0x7f800000, v[44:45]
	s_xor_b32 s21, exec_lo, s8
	s_cbranch_execz .LBB0_870
; %bb.857:                              ;   in Loop: Header=BB0_380 Depth=3
	v_and_b32_e32 v44, 0x7fffffff, v5
	v_mov_b32_e32 v45, v65
	v_and_b32_e32 v2, 0x80, v2
                                        ; implicit-def: $vgpr74
	s_mov_b32 s8, exec_lo
	s_delay_alu instid0(VALU_DEP_2)
	v_cmpx_gt_u64_e32 0x47600001, v[44:45]
	s_xor_b32 s22, exec_lo, s8
	s_cbranch_execz .LBB0_867
; %bb.858:                              ;   in Loop: Header=BB0_380 Depth=3
	v_mov_b32_e32 v74, 0
	s_mov_b32 s23, exec_lo
	v_cmpx_ne_u32_e32 0, v5
	s_cbranch_execz .LBB0_866
; %bb.859:                              ;   in Loop: Header=BB0_380 Depth=3
	v_bfe_u32 v5, v5, 23, 8
	v_or_b32_e32 v76, 0x800000, v16
	s_delay_alu instid0(VALU_DEP_2) | instskip(SKIP_1) | instid1(VALU_DEP_2)
	v_sub_nc_u32_e32 v44, 0x71, v5
	v_cmp_gt_u32_e32 vcc_lo, 0x72, v5
	v_cndmask_b32_e32 v44, 0, v44, vcc_lo
	v_cmp_eq_u32_e32 vcc_lo, 0, v5
	s_delay_alu instid0(VALU_DEP_2) | instskip(NEXT) | instid1(VALU_DEP_1)
	v_cndmask_b32_e64 v74, v44, 0x70, vcc_lo
	v_dual_cndmask_b32 v16, v76, v16, vcc_lo :: v_dual_add_nc_u32 v44, 21, v74
	v_add_nc_u32_e32 v77, 20, v74
	s_delay_alu instid0(VALU_DEP_2) | instskip(NEXT) | instid1(VALU_DEP_2)
	v_lshlrev_b64_e64 v[44:45], v44, -1
	v_lshlrev_b64_e64 v[76:77], v77, 1
	s_delay_alu instid0(VALU_DEP_2) | instskip(SKIP_1) | instid1(VALU_DEP_4)
	v_bfi_b32 v44, v44, 0, v16
	v_lshrrev_b64 v[16:17], v74, v[16:17]
	v_bfi_b32 v45, v45, 0, 0
	s_delay_alu instid0(VALU_DEP_1) | instskip(NEXT) | instid1(VALU_DEP_3)
	v_cmp_eq_u64_e64 s8, v[44:45], v[76:77]
	v_mov_b64_e32 v[44:45], v[16:17]
	s_and_saveexec_b32 s24, s8
; %bb.860:                              ;   in Loop: Header=BB0_380 Depth=3
	v_bfe_u32 v44, v16, 21, 1
	v_mov_b32_e32 v45, v65
	s_delay_alu instid0(VALU_DEP_1) | instskip(NEXT) | instid1(VALU_DEP_1)
	v_add_nc_u64_e32 v[44:45], v[16:17], v[44:45]
	v_add_nc_u64_e32 v[44:45], -1, v[44:45]
; %bb.861:                              ;   in Loop: Header=BB0_380 Depth=3
	s_or_b32 exec_lo, exec_lo, s24
	v_add_nc_u32_e32 v5, 0xffffff81, v5
	v_lshrrev_b32_e32 v17, 23, v16
	s_mov_b32 s8, exec_lo
	s_delay_alu instid0(VALU_DEP_2) | instskip(NEXT) | instid1(VALU_DEP_1)
	v_cndmask_b32_e64 v5, v5, 0xffffff82, vcc_lo
	v_add3_u32 v45, v74, v5, v17
	v_and_b32_e32 v5, 0x1fffff, v44
	s_delay_alu instid0(VALU_DEP_2) | instskip(NEXT) | instid1(VALU_DEP_2)
	v_dual_mov_b32 v17, v65 :: v_dual_add_nc_u32 v44, 14, v45
	v_add_nc_u32_e32 v16, v5, v16
                                        ; implicit-def: $vgpr5
	s_delay_alu instid0(VALU_DEP_2)
	v_cmpx_ne_u32_e32 0, v44
	s_xor_b32 s8, exec_lo, s8
; %bb.862:                              ;   in Loop: Header=BB0_380 Depth=3
	s_delay_alu instid0(VALU_DEP_2) | instskip(SKIP_1) | instid1(VALU_DEP_1)
	v_cmp_lt_u64_e32 vcc_lo, 0xffffff, v[16:17]
	v_add_nc_u32_e32 v5, 15, v45
	v_cndmask_b32_e32 v5, v44, v5, vcc_lo
	v_cndmask_b32_e64 v44, 0, 1, vcc_lo
	s_delay_alu instid0(VALU_DEP_1)
	v_lshrrev_b64 v[16:17], v44, v[16:17]
; %bb.863:                              ;   in Loop: Header=BB0_380 Depth=3
	s_and_not1_saveexec_b32 s8, s8
; %bb.864:                              ;   in Loop: Header=BB0_380 Depth=3
	s_delay_alu instid0(VALU_DEP_1)
	v_bfe_u32 v5, v16, 23, 1
; %bb.865:                              ;   in Loop: Header=BB0_380 Depth=3
	s_or_b32 exec_lo, exec_lo, s8
	s_delay_alu instid0(VALU_DEP_2) | instskip(NEXT) | instid1(VALU_DEP_2)
	v_lshrrev_b64 v[16:17], 21, v[16:17]
	v_cmp_gt_i32_e32 vcc_lo, 32, v5
	v_min_i32_e32 v44, 31, v5
	v_cmp_eq_u32_e64 s8, 0, v5
	s_delay_alu instid0(VALU_DEP_4) | instskip(NEXT) | instid1(VALU_DEP_3)
	v_cndmask_b32_e32 v16, 3, v16, vcc_lo
	v_dual_cndmask_b32 v17, 0, v17 :: v_dual_lshlrev_b32 v44, 2, v44
	s_delay_alu instid0(VALU_DEP_1) | instskip(NEXT) | instid1(VALU_DEP_2)
	v_and_b32_e32 v44, 0xfc, v44
	v_cmp_eq_u64_e32 vcc_lo, 0, v[16:17]
	s_delay_alu instid0(VALU_DEP_2)
	v_and_or_b32 v5, v16, 3, v44
	s_and_b32 s8, s8, vcc_lo
	s_delay_alu instid0(VALU_DEP_1) | instid1(SALU_CYCLE_1)
	v_cndmask_b32_e64 v5, v5, 0, s8
	s_delay_alu instid0(VALU_DEP_1)
	v_or_b32_e32 v74, v5, v2
.LBB0_866:                              ;   in Loop: Header=BB0_380 Depth=3
	s_or_b32 exec_lo, exec_lo, s23
                                        ; implicit-def: $vgpr2
.LBB0_867:                              ;   in Loop: Header=BB0_380 Depth=3
	s_and_not1_saveexec_b32 s8, s22
; %bb.868:                              ;   in Loop: Header=BB0_380 Depth=3
	v_or_b32_e32 v74, 0x7b, v2
; %bb.869:                              ;   in Loop: Header=BB0_380 Depth=3
	s_or_b32 exec_lo, exec_lo, s8
                                        ; implicit-def: $vgpr5
                                        ; implicit-def: $vgpr16_vgpr17
                                        ; implicit-def: $vgpr2
.LBB0_870:                              ;   in Loop: Header=BB0_380 Depth=3
	s_and_not1_saveexec_b32 s8, s21
	s_cbranch_execz .LBB0_876
; %bb.871:                              ;   in Loop: Header=BB0_380 Depth=3
	s_mov_b32 s21, exec_lo
                                        ; implicit-def: $vgpr74
	v_cmpx_ne_u64_e32 0, v[16:17]
	s_xor_b32 s21, exec_lo, s21
; %bb.872:                              ;   in Loop: Header=BB0_380 Depth=3
	v_or_b32_e32 v74, 0x7f, v2
                                        ; implicit-def: $vgpr5
; %bb.873:                              ;   in Loop: Header=BB0_380 Depth=3
	s_and_not1_saveexec_b32 s21, s21
; %bb.874:                              ;   in Loop: Header=BB0_380 Depth=3
	v_cmp_lt_i32_e32 vcc_lo, -1, v5
	v_cndmask_b32_e32 v74, 0xfc, v59, vcc_lo
; %bb.875:                              ;   in Loop: Header=BB0_380 Depth=3
	s_or_b32 exec_lo, exec_lo, s21
.LBB0_876:                              ;   in Loop: Header=BB0_380 Depth=3
	s_delay_alu instid0(SALU_CYCLE_1) | instskip(SKIP_3) | instid1(VALU_DEP_2)
	s_or_b32 exec_lo, exec_lo, s8
	v_dual_mov_b32 v5, 0 :: v_dual_lshrrev_b32 v2, 16, v18
	v_mov_b32_e32 v16, 0
	s_mov_b32 s8, exec_lo
	v_and_b32_e32 v17, 0xff, v2
	s_delay_alu instid0(VALU_DEP_1)
	v_cmpx_ne_u16_e32 0, v17
	s_cbranch_execz .LBB0_886
; %bb.877:                              ;   in Loop: Header=BB0_380 Depth=3
	v_bfrev_b32_e32 v16, 1
	s_mov_b32 s21, exec_lo
	v_cmpx_ne_u16_e32 0x80, v17
	s_cbranch_execz .LBB0_885
; %bb.878:                              ;   in Loop: Header=BB0_380 Depth=3
	v_and_b32_e32 v16, 0x7c0000, v18
	v_bfe_u32 v17, v18, 16, 2
	s_delay_alu instid0(VALU_DEP_2) | instskip(SKIP_1) | instid1(SALU_CYCLE_1)
	v_cmp_ne_u32_e32 vcc_lo, 0x7c0000, v16
                                        ; implicit-def: $vgpr16
	s_and_saveexec_b32 s22, vcc_lo
	s_xor_b32 s22, exec_lo, s22
	s_cbranch_execz .LBB0_882
; %bb.879:                              ;   in Loop: Header=BB0_380 Depth=3
	v_bfe_u32 v16, v18, 18, 5
	s_mov_b32 s23, exec_lo
	s_delay_alu instid0(VALU_DEP_1)
	v_cmpx_eq_u32_e32 0, v16
; %bb.880:                              ;   in Loop: Header=BB0_380 Depth=3
	v_clz_i32_u32_e32 v16, v17
	s_delay_alu instid0(VALU_DEP_1) | instskip(NEXT) | instid1(VALU_DEP_1)
	v_min_u32_e32 v16, 32, v16
	v_subrev_nc_u32_e32 v17, 29, v16
	v_sub_nc_u32_e32 v16, 30, v16
	s_delay_alu instid0(VALU_DEP_2) | instskip(NEXT) | instid1(VALU_DEP_1)
	v_lshlrev_b64_e32 v[44:45], v17, v[2:3]
	v_and_b32_e32 v17, 3, v44
; %bb.881:                              ;   in Loop: Header=BB0_380 Depth=3
	s_or_b32 exec_lo, exec_lo, s23
	v_lshlrev_b32_e32 v2, 24, v2
	s_delay_alu instid0(VALU_DEP_1) | instskip(NEXT) | instid1(VALU_DEP_1)
	v_and_b32_e32 v2, 0x80000000, v2
	v_lshl_add_u32 v2, v16, 23, v2
	s_delay_alu instid0(VALU_DEP_1) | instskip(NEXT) | instid1(VALU_DEP_1)
	v_lshl_or_b32 v2, v17, 21, v2
                                        ; implicit-def: $vgpr17
	v_add_nc_u32_e32 v16, 0x38000000, v2
                                        ; implicit-def: $vgpr2
.LBB0_882:                              ;   in Loop: Header=BB0_380 Depth=3
	s_and_not1_saveexec_b32 s22, s22
; %bb.883:                              ;   in Loop: Header=BB0_380 Depth=3
	v_bfe_i32 v2, v2, 0, 8
	s_delay_alu instid0(VALU_DEP_1) | instskip(SKIP_2) | instid1(VALU_DEP_2)
	v_cmp_lt_i16_e32 vcc_lo, -1, v2
	v_cndmask_b32_e32 v2, 0xff800000, v21, vcc_lo
	v_cmp_eq_u32_e32 vcc_lo, 0, v17
	v_cndmask_b32_e32 v16, 0x7f800001, v2, vcc_lo
; %bb.884:                              ;   in Loop: Header=BB0_380 Depth=3
	s_or_b32 exec_lo, exec_lo, s22
.LBB0_885:                              ;   in Loop: Header=BB0_380 Depth=3
	s_delay_alu instid0(SALU_CYCLE_1)
	s_or_b32 exec_lo, exec_lo, s21
.LBB0_886:                              ;   in Loop: Header=BB0_380 Depth=3
	s_delay_alu instid0(SALU_CYCLE_1) | instskip(SKIP_2) | instid1(VALU_DEP_1)
	s_or_b32 exec_lo, exec_lo, s8
	v_lshrrev_b32_e32 v2, 16, v4
	s_mov_b32 s8, exec_lo
	v_and_b32_e32 v17, 0xff, v2
	s_delay_alu instid0(VALU_DEP_1)
	v_cmpx_ne_u16_e32 0, v17
	s_cbranch_execz .LBB0_896
; %bb.887:                              ;   in Loop: Header=BB0_380 Depth=3
	v_bfrev_b32_e32 v5, 1
	s_mov_b32 s21, exec_lo
	v_cmpx_ne_u16_e32 0x80, v17
	s_cbranch_execz .LBB0_895
; %bb.888:                              ;   in Loop: Header=BB0_380 Depth=3
	v_and_b32_e32 v5, 0x7c0000, v4
	v_bfe_u32 v17, v4, 16, 2
	s_delay_alu instid0(VALU_DEP_2) | instskip(SKIP_1) | instid1(SALU_CYCLE_1)
	v_cmp_ne_u32_e32 vcc_lo, 0x7c0000, v5
                                        ; implicit-def: $vgpr5
	s_and_saveexec_b32 s22, vcc_lo
	s_xor_b32 s22, exec_lo, s22
	s_cbranch_execz .LBB0_892
; %bb.889:                              ;   in Loop: Header=BB0_380 Depth=3
	v_bfe_u32 v5, v4, 18, 5
	s_mov_b32 s23, exec_lo
	s_delay_alu instid0(VALU_DEP_1)
	v_cmpx_eq_u32_e32 0, v5
; %bb.890:                              ;   in Loop: Header=BB0_380 Depth=3
	v_clz_i32_u32_e32 v5, v17
	s_delay_alu instid0(VALU_DEP_1) | instskip(NEXT) | instid1(VALU_DEP_1)
	v_min_u32_e32 v5, 32, v5
	v_subrev_nc_u32_e32 v17, 29, v5
	s_delay_alu instid0(VALU_DEP_1) | instskip(NEXT) | instid1(VALU_DEP_1)
	v_lshlrev_b64_e32 v[44:45], v17, v[2:3]
	v_dual_sub_nc_u32 v5, 30, v5 :: v_dual_bitop2_b32 v17, 3, v44 bitop3:0x40
; %bb.891:                              ;   in Loop: Header=BB0_380 Depth=3
	s_or_b32 exec_lo, exec_lo, s23
	v_lshlrev_b32_e32 v2, 24, v2
	s_delay_alu instid0(VALU_DEP_1) | instskip(NEXT) | instid1(VALU_DEP_1)
	v_and_b32_e32 v2, 0x80000000, v2
	v_lshl_add_u32 v2, v5, 23, v2
	s_delay_alu instid0(VALU_DEP_1) | instskip(NEXT) | instid1(VALU_DEP_1)
	v_lshl_or_b32 v2, v17, 21, v2
                                        ; implicit-def: $vgpr17
	v_add_nc_u32_e32 v5, 0x38000000, v2
                                        ; implicit-def: $vgpr2
.LBB0_892:                              ;   in Loop: Header=BB0_380 Depth=3
	s_and_not1_saveexec_b32 s22, s22
; %bb.893:                              ;   in Loop: Header=BB0_380 Depth=3
	v_bfe_i32 v2, v2, 0, 8
	s_delay_alu instid0(VALU_DEP_1) | instskip(SKIP_2) | instid1(VALU_DEP_2)
	v_cmp_lt_i16_e32 vcc_lo, -1, v2
	v_cndmask_b32_e32 v2, 0xff800000, v21, vcc_lo
	v_cmp_eq_u32_e32 vcc_lo, 0, v17
	v_cndmask_b32_e32 v5, 0x7f800001, v2, vcc_lo
; %bb.894:                              ;   in Loop: Header=BB0_380 Depth=3
	s_or_b32 exec_lo, exec_lo, s22
.LBB0_895:                              ;   in Loop: Header=BB0_380 Depth=3
	s_delay_alu instid0(SALU_CYCLE_1)
	s_or_b32 exec_lo, exec_lo, s21
.LBB0_896:                              ;   in Loop: Header=BB0_380 Depth=3
	s_delay_alu instid0(SALU_CYCLE_1) | instskip(NEXT) | instid1(VALU_DEP_1)
	s_or_b32 exec_lo, exec_lo, s8
	v_dual_add_f32 v5, v16, v5 :: v_dual_mov_b32 v45, v65
	s_delay_alu instid0(VALU_DEP_1) | instskip(SKIP_2) | instid1(VALU_DEP_2)
	v_dual_mov_b32 v17, v65 :: v_dual_lshrrev_b32 v2, 24, v5
	v_and_b32_e32 v44, 0x7f800000, v5
	v_and_b32_e32 v16, 0x7fffff, v5
	v_cmp_ne_u64_e32 vcc_lo, 0x7f800000, v[44:45]
                                        ; implicit-def: $vgpr44
	s_and_saveexec_b32 s8, vcc_lo
	s_delay_alu instid0(SALU_CYCLE_1)
	s_xor_b32 s21, exec_lo, s8
	s_cbranch_execz .LBB0_910
; %bb.897:                              ;   in Loop: Header=BB0_380 Depth=3
	v_and_b32_e32 v44, 0x7fffffff, v5
	v_mov_b32_e32 v45, v65
	v_and_b32_e32 v2, 0x80, v2
	s_delay_alu instid0(VALU_DEP_2) | instskip(SKIP_1) | instid1(SALU_CYCLE_1)
	v_cmp_gt_u64_e32 vcc_lo, 0x47600001, v[44:45]
                                        ; implicit-def: $vgpr44
	s_and_saveexec_b32 s8, vcc_lo
	s_xor_b32 s22, exec_lo, s8
	s_cbranch_execz .LBB0_907
; %bb.898:                              ;   in Loop: Header=BB0_380 Depth=3
	v_mov_b32_e32 v44, 0
	s_mov_b32 s23, exec_lo
	v_cmpx_ne_u32_e32 0, v5
	s_cbranch_execz .LBB0_906
; %bb.899:                              ;   in Loop: Header=BB0_380 Depth=3
	v_bfe_u32 v5, v5, 23, 8
	v_or_b32_e32 v77, 0x800000, v16
	s_delay_alu instid0(VALU_DEP_2) | instskip(SKIP_1) | instid1(VALU_DEP_2)
	v_sub_nc_u32_e32 v44, 0x71, v5
	v_cmp_gt_u32_e32 vcc_lo, 0x72, v5
	v_cndmask_b32_e32 v44, 0, v44, vcc_lo
	v_cmp_eq_u32_e32 vcc_lo, 0, v5
	s_delay_alu instid0(VALU_DEP_2) | instskip(SKIP_1) | instid1(VALU_DEP_2)
	v_cndmask_b32_e64 v76, v44, 0x70, vcc_lo
	v_cndmask_b32_e32 v16, v77, v16, vcc_lo
	v_dual_add_nc_u32 v44, 21, v76 :: v_dual_add_nc_u32 v78, 20, v76
	s_delay_alu instid0(VALU_DEP_1) | instskip(NEXT) | instid1(VALU_DEP_2)
	v_lshlrev_b64_e64 v[44:45], v44, -1
	v_lshlrev_b64_e64 v[78:79], v78, 1
	s_delay_alu instid0(VALU_DEP_2) | instskip(SKIP_1) | instid1(VALU_DEP_4)
	v_bfi_b32 v44, v44, 0, v16
	v_lshrrev_b64 v[16:17], v76, v[16:17]
	v_bfi_b32 v45, v45, 0, 0
	s_delay_alu instid0(VALU_DEP_1) | instskip(NEXT) | instid1(VALU_DEP_3)
	v_cmp_eq_u64_e64 s8, v[44:45], v[78:79]
	v_mov_b64_e32 v[44:45], v[16:17]
	s_and_saveexec_b32 s24, s8
; %bb.900:                              ;   in Loop: Header=BB0_380 Depth=3
	v_bfe_u32 v44, v16, 21, 1
	v_mov_b32_e32 v45, v65
	s_delay_alu instid0(VALU_DEP_1) | instskip(NEXT) | instid1(VALU_DEP_1)
	v_add_nc_u64_e32 v[44:45], v[16:17], v[44:45]
	v_add_nc_u64_e32 v[44:45], -1, v[44:45]
; %bb.901:                              ;   in Loop: Header=BB0_380 Depth=3
	s_or_b32 exec_lo, exec_lo, s24
	v_add_nc_u32_e32 v5, 0xffffff81, v5
	v_lshrrev_b32_e32 v17, 23, v16
	s_mov_b32 s8, exec_lo
	s_delay_alu instid0(VALU_DEP_2) | instskip(NEXT) | instid1(VALU_DEP_1)
	v_cndmask_b32_e64 v5, v5, 0xffffff82, vcc_lo
	v_add3_u32 v45, v76, v5, v17
	v_and_b32_e32 v5, 0x1fffff, v44
	s_delay_alu instid0(VALU_DEP_2) | instskip(NEXT) | instid1(VALU_DEP_2)
	v_dual_mov_b32 v17, v65 :: v_dual_add_nc_u32 v44, 14, v45
	v_add_nc_u32_e32 v16, v5, v16
                                        ; implicit-def: $vgpr5
	s_delay_alu instid0(VALU_DEP_2)
	v_cmpx_ne_u32_e32 0, v44
	s_xor_b32 s8, exec_lo, s8
; %bb.902:                              ;   in Loop: Header=BB0_380 Depth=3
	s_delay_alu instid0(VALU_DEP_2) | instskip(SKIP_1) | instid1(VALU_DEP_1)
	v_cmp_lt_u64_e32 vcc_lo, 0xffffff, v[16:17]
	v_add_nc_u32_e32 v5, 15, v45
	v_cndmask_b32_e32 v5, v44, v5, vcc_lo
	v_cndmask_b32_e64 v44, 0, 1, vcc_lo
	s_delay_alu instid0(VALU_DEP_1)
	v_lshrrev_b64 v[16:17], v44, v[16:17]
; %bb.903:                              ;   in Loop: Header=BB0_380 Depth=3
	s_and_not1_saveexec_b32 s8, s8
; %bb.904:                              ;   in Loop: Header=BB0_380 Depth=3
	s_delay_alu instid0(VALU_DEP_1)
	v_bfe_u32 v5, v16, 23, 1
; %bb.905:                              ;   in Loop: Header=BB0_380 Depth=3
	s_or_b32 exec_lo, exec_lo, s8
	s_delay_alu instid0(VALU_DEP_2) | instskip(NEXT) | instid1(VALU_DEP_2)
	v_lshrrev_b64 v[16:17], 21, v[16:17]
	v_cmp_gt_i32_e32 vcc_lo, 32, v5
	v_min_i32_e32 v44, 31, v5
	v_cmp_eq_u32_e64 s8, 0, v5
	s_delay_alu instid0(VALU_DEP_4) | instskip(NEXT) | instid1(VALU_DEP_3)
	v_cndmask_b32_e32 v16, 3, v16, vcc_lo
	v_dual_cndmask_b32 v17, 0, v17 :: v_dual_lshlrev_b32 v44, 2, v44
	s_delay_alu instid0(VALU_DEP_1) | instskip(NEXT) | instid1(VALU_DEP_2)
	v_and_b32_e32 v44, 0xfc, v44
	v_cmp_eq_u64_e32 vcc_lo, 0, v[16:17]
	s_delay_alu instid0(VALU_DEP_2)
	v_and_or_b32 v5, v16, 3, v44
	s_and_b32 s8, s8, vcc_lo
	s_delay_alu instid0(VALU_DEP_1) | instid1(SALU_CYCLE_1)
	v_cndmask_b32_e64 v5, v5, 0, s8
	s_delay_alu instid0(VALU_DEP_1)
	v_or_b32_e32 v44, v5, v2
.LBB0_906:                              ;   in Loop: Header=BB0_380 Depth=3
	s_or_b32 exec_lo, exec_lo, s23
                                        ; implicit-def: $vgpr2
.LBB0_907:                              ;   in Loop: Header=BB0_380 Depth=3
	s_and_not1_saveexec_b32 s8, s22
; %bb.908:                              ;   in Loop: Header=BB0_380 Depth=3
	v_or_b32_e32 v44, 0x7b, v2
; %bb.909:                              ;   in Loop: Header=BB0_380 Depth=3
	s_or_b32 exec_lo, exec_lo, s8
                                        ; implicit-def: $vgpr5
                                        ; implicit-def: $vgpr16_vgpr17
                                        ; implicit-def: $vgpr2
.LBB0_910:                              ;   in Loop: Header=BB0_380 Depth=3
	s_and_not1_saveexec_b32 s8, s21
	s_cbranch_execz .LBB0_916
; %bb.911:                              ;   in Loop: Header=BB0_380 Depth=3
	s_mov_b32 s21, exec_lo
                                        ; implicit-def: $vgpr44
	v_cmpx_ne_u64_e32 0, v[16:17]
	s_xor_b32 s21, exec_lo, s21
; %bb.912:                              ;   in Loop: Header=BB0_380 Depth=3
	v_or_b32_e32 v44, 0x7f, v2
                                        ; implicit-def: $vgpr5
; %bb.913:                              ;   in Loop: Header=BB0_380 Depth=3
	s_and_not1_saveexec_b32 s21, s21
; %bb.914:                              ;   in Loop: Header=BB0_380 Depth=3
	v_cmp_lt_i32_e32 vcc_lo, -1, v5
	v_cndmask_b32_e32 v44, 0xfc, v59, vcc_lo
; %bb.915:                              ;   in Loop: Header=BB0_380 Depth=3
	s_or_b32 exec_lo, exec_lo, s21
.LBB0_916:                              ;   in Loop: Header=BB0_380 Depth=3
	s_delay_alu instid0(SALU_CYCLE_1) | instskip(SKIP_3) | instid1(VALU_DEP_2)
	s_or_b32 exec_lo, exec_lo, s8
	v_dual_mov_b32 v16, v65 :: v_dual_mov_b32 v17, v18
	v_dual_mov_b32 v45, 0 :: v_dual_mov_b32 v76, 0
	s_mov_b32 s8, exec_lo
	v_cmpx_lt_u64_e64 s[12:13], v[16:17]
	s_cbranch_execz .LBB0_926
; %bb.917:                              ;   in Loop: Header=BB0_380 Depth=3
	v_lshrrev_b32_e32 v2, 24, v18
	v_bfrev_b32_e32 v76, 1
	s_mov_b32 s21, exec_lo
	s_delay_alu instid0(VALU_DEP_2)
	v_cmpx_ne_u32_e32 0x80, v2
	s_cbranch_execz .LBB0_925
; %bb.918:                              ;   in Loop: Header=BB0_380 Depth=3
	v_and_b32_e32 v76, 0x7c000000, v18
	v_bfe_u32 v5, v18, 24, 2
	s_delay_alu instid0(VALU_DEP_2) | instskip(SKIP_1) | instid1(SALU_CYCLE_1)
	v_cmp_ne_u32_e32 vcc_lo, 0x7c000000, v76
                                        ; implicit-def: $vgpr76
	s_and_saveexec_b32 s22, vcc_lo
	s_xor_b32 s22, exec_lo, s22
	s_cbranch_execz .LBB0_922
; %bb.919:                              ;   in Loop: Header=BB0_380 Depth=3
	v_bfe_u32 v16, v18, 26, 5
	s_mov_b32 s23, exec_lo
	s_delay_alu instid0(VALU_DEP_1)
	v_cmpx_eq_u32_e32 0, v16
; %bb.920:                              ;   in Loop: Header=BB0_380 Depth=3
	v_clz_i32_u32_e32 v5, v5
	s_delay_alu instid0(VALU_DEP_1) | instskip(NEXT) | instid1(VALU_DEP_1)
	v_min_u32_e32 v5, 32, v5
	v_subrev_nc_u32_e32 v16, 29, v5
	s_delay_alu instid0(VALU_DEP_1) | instskip(NEXT) | instid1(VALU_DEP_1)
	v_lshlrev_b64_e32 v[76:77], v16, v[2:3]
	v_dual_sub_nc_u32 v16, 30, v5 :: v_dual_bitop2_b32 v5, 3, v76 bitop3:0x40
; %bb.921:                              ;   in Loop: Header=BB0_380 Depth=3
	s_or_b32 exec_lo, exec_lo, s23
	v_and_b32_e32 v2, 0x80000000, v18
	s_delay_alu instid0(VALU_DEP_1) | instskip(NEXT) | instid1(VALU_DEP_1)
	v_lshl_add_u32 v2, v16, 23, v2
                                        ; implicit-def: $vgpr16_vgpr17
	v_lshl_or_b32 v2, v5, 21, v2
                                        ; implicit-def: $vgpr5
	s_delay_alu instid0(VALU_DEP_1)
	v_add_nc_u32_e32 v76, 0x38000000, v2
.LBB0_922:                              ;   in Loop: Header=BB0_380 Depth=3
	s_and_not1_saveexec_b32 s22, s22
; %bb.923:                              ;   in Loop: Header=BB0_380 Depth=3
	v_cmp_lt_i64_e32 vcc_lo, -1, v[16:17]
	v_cndmask_b32_e32 v2, 0xff800000, v21, vcc_lo
	v_cmp_eq_u32_e32 vcc_lo, 0, v5
	s_delay_alu instid0(VALU_DEP_2)
	v_cndmask_b32_e32 v76, 0x7f800001, v2, vcc_lo
; %bb.924:                              ;   in Loop: Header=BB0_380 Depth=3
	s_or_b32 exec_lo, exec_lo, s22
.LBB0_925:                              ;   in Loop: Header=BB0_380 Depth=3
	s_delay_alu instid0(SALU_CYCLE_1)
	s_or_b32 exec_lo, exec_lo, s21
.LBB0_926:                              ;   in Loop: Header=BB0_380 Depth=3
	s_delay_alu instid0(SALU_CYCLE_1) | instskip(NEXT) | instid1(SALU_CYCLE_1)
	s_or_b32 exec_lo, exec_lo, s8
	s_mov_b32 s8, exec_lo
	v_cmpx_lt_u32_e32 0xffffff, v4
	s_cbranch_execz .LBB0_936
; %bb.927:                              ;   in Loop: Header=BB0_380 Depth=3
	v_lshrrev_b32_e32 v2, 24, v4
	v_bfrev_b32_e32 v45, 1
	s_mov_b32 s21, exec_lo
	s_delay_alu instid0(VALU_DEP_2)
	v_cmpx_ne_u32_e32 0x80, v2
	s_cbranch_execz .LBB0_935
; %bb.928:                              ;   in Loop: Header=BB0_380 Depth=3
	v_and_b32_e32 v5, 0x7c000000, v4
	v_bfe_u32 v16, v4, 24, 2
	s_mov_b32 s22, exec_lo
                                        ; implicit-def: $vgpr45
	s_delay_alu instid0(VALU_DEP_2)
	v_cmpx_ne_u32_e32 0x7c000000, v5
	s_xor_b32 s22, exec_lo, s22
	s_cbranch_execz .LBB0_932
; %bb.929:                              ;   in Loop: Header=BB0_380 Depth=3
	v_bfe_u32 v5, v4, 26, 5
	s_mov_b32 s23, exec_lo
	s_delay_alu instid0(VALU_DEP_1)
	v_cmpx_eq_u32_e32 0, v5
; %bb.930:                              ;   in Loop: Header=BB0_380 Depth=3
	v_clz_i32_u32_e32 v5, v16
	s_delay_alu instid0(VALU_DEP_1) | instskip(NEXT) | instid1(VALU_DEP_1)
	v_min_u32_e32 v5, 32, v5
	v_subrev_nc_u32_e32 v16, 29, v5
	s_delay_alu instid0(VALU_DEP_1) | instskip(NEXT) | instid1(VALU_DEP_1)
	v_lshlrev_b64_e32 v[16:17], v16, v[2:3]
	v_dual_sub_nc_u32 v5, 30, v5 :: v_dual_bitop2_b32 v16, 3, v16 bitop3:0x40
; %bb.931:                              ;   in Loop: Header=BB0_380 Depth=3
	s_or_b32 exec_lo, exec_lo, s23
	v_and_b32_e32 v2, 0x80000000, v4
	s_delay_alu instid0(VALU_DEP_1) | instskip(NEXT) | instid1(VALU_DEP_1)
	v_lshl_add_u32 v2, v5, 23, v2
                                        ; implicit-def: $vgpr4_vgpr5
	v_lshl_or_b32 v2, v16, 21, v2
                                        ; implicit-def: $vgpr16
	s_delay_alu instid0(VALU_DEP_1)
	v_add_nc_u32_e32 v45, 0x38000000, v2
.LBB0_932:                              ;   in Loop: Header=BB0_380 Depth=3
	s_and_not1_saveexec_b32 s22, s22
; %bb.933:                              ;   in Loop: Header=BB0_380 Depth=3
	v_cmp_lt_i32_e32 vcc_lo, -1, v4
	v_cndmask_b32_e32 v2, 0xff800000, v21, vcc_lo
	v_cmp_eq_u32_e32 vcc_lo, 0, v16
	s_delay_alu instid0(VALU_DEP_2)
	v_cndmask_b32_e32 v45, 0x7f800001, v2, vcc_lo
; %bb.934:                              ;   in Loop: Header=BB0_380 Depth=3
	s_or_b32 exec_lo, exec_lo, s22
.LBB0_935:                              ;   in Loop: Header=BB0_380 Depth=3
	s_delay_alu instid0(SALU_CYCLE_1)
	s_or_b32 exec_lo, exec_lo, s21
.LBB0_936:                              ;   in Loop: Header=BB0_380 Depth=3
	s_delay_alu instid0(SALU_CYCLE_1) | instskip(NEXT) | instid1(VALU_DEP_1)
	s_or_b32 exec_lo, exec_lo, s8
	v_dual_add_f32 v17, v76, v45 :: v_dual_mov_b32 v77, v65
	v_mov_b32_e32 v5, v65
                                        ; implicit-def: $vgpr16
	s_mov_b32 s8, exec_lo
	s_delay_alu instid0(VALU_DEP_2) | instskip(SKIP_2) | instid1(VALU_DEP_3)
	v_and_b32_e32 v76, 0x7f800000, v17
	v_and_b32_e32 v4, 0x7fffff, v17
	v_lshrrev_b32_e32 v2, 24, v17
	v_cmpx_ne_u64_e32 0x7f800000, v[76:77]
	s_xor_b32 s21, exec_lo, s8
	s_cbranch_execz .LBB0_950
; %bb.937:                              ;   in Loop: Header=BB0_380 Depth=3
	v_and_b32_e32 v76, 0x7fffffff, v17
	v_mov_b32_e32 v77, v65
	v_and_b32_e32 v2, 0x80, v2
                                        ; implicit-def: $vgpr16
	s_mov_b32 s8, exec_lo
	s_delay_alu instid0(VALU_DEP_2)
	v_cmpx_gt_u64_e32 0x47600001, v[76:77]
	s_xor_b32 s22, exec_lo, s8
	s_cbranch_execz .LBB0_947
; %bb.938:                              ;   in Loop: Header=BB0_380 Depth=3
	v_mov_b32_e32 v16, 0
	s_mov_b32 s23, exec_lo
	v_cmpx_ne_u32_e32 0, v17
	s_cbranch_execz .LBB0_946
; %bb.939:                              ;   in Loop: Header=BB0_380 Depth=3
	v_bfe_u32 v18, v17, 23, 8
	v_or_b32_e32 v76, 0x800000, v4
	s_delay_alu instid0(VALU_DEP_2) | instskip(SKIP_1) | instid1(VALU_DEP_2)
	v_sub_nc_u32_e32 v16, 0x71, v18
	v_cmp_gt_u32_e32 vcc_lo, 0x72, v18
	v_cndmask_b32_e32 v16, 0, v16, vcc_lo
	v_cmp_eq_u32_e32 vcc_lo, 0, v18
	s_delay_alu instid0(VALU_DEP_2) | instskip(NEXT) | instid1(VALU_DEP_1)
	v_cndmask_b32_e64 v45, v16, 0x70, vcc_lo
	v_dual_cndmask_b32 v4, v76, v4, vcc_lo :: v_dual_add_nc_u32 v16, 21, v45
	v_add_nc_u32_e32 v77, 20, v45
	s_delay_alu instid0(VALU_DEP_2) | instskip(NEXT) | instid1(VALU_DEP_2)
	v_lshlrev_b64_e64 v[16:17], v16, -1
	v_lshlrev_b64_e64 v[76:77], v77, 1
	s_delay_alu instid0(VALU_DEP_2) | instskip(SKIP_1) | instid1(VALU_DEP_4)
	v_bfi_b32 v16, v16, 0, v4
	v_lshrrev_b64 v[4:5], v45, v[4:5]
	v_bfi_b32 v17, v17, 0, 0
	s_delay_alu instid0(VALU_DEP_1) | instskip(NEXT) | instid1(VALU_DEP_3)
	v_cmp_eq_u64_e64 s8, v[16:17], v[76:77]
	v_mov_b64_e32 v[16:17], v[4:5]
	s_and_saveexec_b32 s24, s8
; %bb.940:                              ;   in Loop: Header=BB0_380 Depth=3
	v_bfe_u32 v16, v4, 21, 1
	v_mov_b32_e32 v17, v65
	s_delay_alu instid0(VALU_DEP_1) | instskip(NEXT) | instid1(VALU_DEP_1)
	v_add_nc_u64_e32 v[16:17], v[4:5], v[16:17]
	v_add_nc_u64_e32 v[16:17], -1, v[16:17]
; %bb.941:                              ;   in Loop: Header=BB0_380 Depth=3
	s_or_b32 exec_lo, exec_lo, s24
	v_add_nc_u32_e32 v5, 0xffffff81, v18
	v_lshrrev_b32_e32 v17, 23, v4
	s_mov_b32 s8, exec_lo
	s_delay_alu instid0(VALU_DEP_2) | instskip(NEXT) | instid1(VALU_DEP_1)
	v_cndmask_b32_e64 v5, v5, 0xffffff82, vcc_lo
	v_add3_u32 v17, v45, v5, v17
	v_and_b32_e32 v5, 0x1fffff, v16
                                        ; implicit-def: $vgpr16
	s_delay_alu instid0(VALU_DEP_1) | instskip(SKIP_1) | instid1(VALU_DEP_2)
	v_dual_add_nc_u32 v18, 14, v17 :: v_dual_add_nc_u32 v4, v5, v4
	v_mov_b32_e32 v5, v65
	v_cmpx_ne_u32_e32 0, v18
	s_xor_b32 s8, exec_lo, s8
; %bb.942:                              ;   in Loop: Header=BB0_380 Depth=3
	s_delay_alu instid0(VALU_DEP_2) | instskip(SKIP_2) | instid1(VALU_DEP_2)
	v_cmp_lt_u64_e32 vcc_lo, 0xffffff, v[4:5]
	v_add_nc_u32_e32 v16, 15, v17
	v_cndmask_b32_e64 v17, 0, 1, vcc_lo
	v_cndmask_b32_e32 v16, v18, v16, vcc_lo
	s_delay_alu instid0(VALU_DEP_2)
	v_lshrrev_b64 v[4:5], v17, v[4:5]
; %bb.943:                              ;   in Loop: Header=BB0_380 Depth=3
	s_and_not1_saveexec_b32 s8, s8
; %bb.944:                              ;   in Loop: Header=BB0_380 Depth=3
	s_delay_alu instid0(VALU_DEP_1)
	v_bfe_u32 v16, v4, 23, 1
; %bb.945:                              ;   in Loop: Header=BB0_380 Depth=3
	s_or_b32 exec_lo, exec_lo, s8
	s_delay_alu instid0(VALU_DEP_2) | instskip(NEXT) | instid1(VALU_DEP_2)
	v_lshrrev_b64 v[4:5], 21, v[4:5]
	v_cmp_gt_i32_e32 vcc_lo, 32, v16
	v_min_i32_e32 v17, 31, v16
	v_cmp_eq_u32_e64 s8, 0, v16
	s_delay_alu instid0(VALU_DEP_4) | instskip(NEXT) | instid1(VALU_DEP_3)
	v_cndmask_b32_e32 v5, 0, v5, vcc_lo
	v_dual_cndmask_b32 v4, 3, v4 :: v_dual_lshlrev_b32 v17, 2, v17
	s_delay_alu instid0(VALU_DEP_1) | instskip(NEXT) | instid1(VALU_DEP_2)
	v_and_b32_e32 v17, 0xfc, v17
	v_cmp_eq_u64_e32 vcc_lo, 0, v[4:5]
	s_delay_alu instid0(VALU_DEP_2)
	v_and_or_b32 v4, v4, 3, v17
	s_and_b32 s8, s8, vcc_lo
	s_delay_alu instid0(VALU_DEP_1) | instid1(SALU_CYCLE_1)
	v_cndmask_b32_e64 v4, v4, 0, s8
	s_delay_alu instid0(VALU_DEP_1)
	v_or_b32_e32 v16, v4, v2
.LBB0_946:                              ;   in Loop: Header=BB0_380 Depth=3
	s_or_b32 exec_lo, exec_lo, s23
                                        ; implicit-def: $vgpr2
.LBB0_947:                              ;   in Loop: Header=BB0_380 Depth=3
	s_and_not1_saveexec_b32 s8, s22
; %bb.948:                              ;   in Loop: Header=BB0_380 Depth=3
	v_or_b32_e32 v16, 0x7b, v2
; %bb.949:                              ;   in Loop: Header=BB0_380 Depth=3
	s_or_b32 exec_lo, exec_lo, s8
                                        ; implicit-def: $vgpr17
                                        ; implicit-def: $vgpr4_vgpr5
                                        ; implicit-def: $vgpr2
.LBB0_950:                              ;   in Loop: Header=BB0_380 Depth=3
	s_and_not1_saveexec_b32 s8, s21
	s_cbranch_execz .LBB0_379
; %bb.951:                              ;   in Loop: Header=BB0_380 Depth=3
	s_mov_b32 s21, exec_lo
                                        ; implicit-def: $vgpr16
	v_cmpx_ne_u64_e32 0, v[4:5]
	s_xor_b32 s21, exec_lo, s21
; %bb.952:                              ;   in Loop: Header=BB0_380 Depth=3
	v_or_b32_e32 v16, 0x7f, v2
                                        ; implicit-def: $vgpr17
; %bb.953:                              ;   in Loop: Header=BB0_380 Depth=3
	s_and_not1_saveexec_b32 s21, s21
	s_cbranch_execz .LBB0_378
; %bb.954:                              ;   in Loop: Header=BB0_380 Depth=3
	v_cmp_lt_i32_e32 vcc_lo, -1, v17
	v_cndmask_b32_e32 v16, 0xfc, v59, vcc_lo
	s_branch .LBB0_378
.LBB0_955:                              ;   in Loop: Header=BB0_335 Depth=2
	s_or_b32 exec_lo, exec_lo, s20
	s_delay_alu instid0(SALU_CYCLE_1)
	s_or_b32 exec_lo, exec_lo, s19
	s_and_saveexec_b32 s8, s3
	s_cbranch_execz .LBB0_372
.LBB0_956:                              ;   in Loop: Header=BB0_335 Depth=2
	s_and_saveexec_b32 s19, s4
	s_delay_alu instid0(SALU_CYCLE_1)
	s_xor_b32 s19, exec_lo, s19
	s_cbranch_execz .LBB0_971
; %bb.957:                              ;   in Loop: Header=BB0_335 Depth=2
	s_and_saveexec_b32 s20, s5
	s_cbranch_execz .LBB0_970
; %bb.958:                              ;   in Loop: Header=BB0_335 Depth=2
	s_mov_b32 s22, exec_lo
	s_mov_b32 s21, exec_lo
	v_mbcnt_lo_u32_b32 v2, s22, 0
	global_wb scope:SCOPE_DEV
	s_wait_storecnt 0x0
	s_wait_loadcnt_dscnt 0x0
	global_inv scope:SCOPE_DEV
	v_cmpx_eq_u32_e32 0, v2
	s_cbranch_execz .LBB0_960
; %bb.959:                              ;   in Loop: Header=BB0_335 Depth=2
	s_bcnt1_i32_b32 s22, s22
	s_delay_alu instid0(SALU_CYCLE_1)
	v_dual_mov_b32 v5, v65 :: v_dual_mov_b32 v4, s22
	s_wait_loadcnt 0x0
	ds_add_u64 v0, v[4:5]
	s_trap 2
.LBB0_960:                              ;   in Loop: Header=BB0_335 Depth=2
	s_or_b32 exec_lo, exec_lo, s21
	s_trap 2
	ds_load_b64 v[4:5], v0
	s_wait_dscnt 0x0
	v_add_nc_u64_e32 v[52:53], v[52:53], v[82:83]
	s_mov_b32 s21, exec_lo
	s_delay_alu instid0(VALU_DEP_1)
	v_cmpx_lt_u64_e64 v[4:5], v[52:53]
	s_cbranch_execz .LBB0_969
; %bb.961:                              ;   in Loop: Header=BB0_335 Depth=2
	s_mov_b32 s22, 0
	s_mov_b32 s25, 0
                                        ; implicit-def: $sgpr23
                                        ; implicit-def: $sgpr24
	s_branch .LBB0_963
.LBB0_962:                              ;   in Loop: Header=BB0_963 Depth=3
	s_or_b32 exec_lo, exec_lo, s27
	s_delay_alu instid0(SALU_CYCLE_1) | instskip(NEXT) | instid1(SALU_CYCLE_1)
	s_and_b32 s26, exec_lo, s28
	s_or_b32 s22, s26, s22
	s_and_not1_b32 s23, s23, exec_lo
	s_and_b32 s26, s24, exec_lo
	s_delay_alu instid0(SALU_CYCLE_1)
	s_or_b32 s23, s23, s26
	s_and_not1_b32 exec_lo, exec_lo, s22
	s_cbranch_execz .LBB0_967
.LBB0_963:                              ;   Parent Loop BB0_46 Depth=1
                                        ;     Parent Loop BB0_335 Depth=2
                                        ; =>    This Inner Loop Header: Depth=3
	s_add_co_i32 s25, s25, 1
	s_delay_alu instid0(SALU_CYCLE_1) | instskip(SKIP_1) | instid1(SALU_CYCLE_1)
	s_cmp_lg_u32 s25, 0x2710
	s_cselect_b32 s26, -1, 0
	s_and_b32 vcc_lo, exec_lo, s26
	s_cbranch_vccz .LBB0_965
; %bb.964:                              ;   in Loop: Header=BB0_963 Depth=3
	s_mov_b32 s28, -1
	s_or_b32 s24, s24, exec_lo
	s_and_saveexec_b32 s27, s26
	s_cbranch_execz .LBB0_962
	s_branch .LBB0_966
.LBB0_965:                              ;   in Loop: Header=BB0_963 Depth=3
	s_trap 2
	ds_load_b64 v[4:5], v0
	s_and_not1_b32 s26, s26, exec_lo
	s_mov_b32 s25, 0
	s_wait_loadcnt_dscnt 0x0
	flat_load_b32 v2, v[4:5] scope:SCOPE_SYS
	s_wait_loadcnt_dscnt 0x0
	global_inv scope:SCOPE_SYS
	v_cmp_eq_u32_e32 vcc_lo, 0, v2
	s_and_b32 s27, vcc_lo, exec_lo
	s_delay_alu instid0(SALU_CYCLE_1)
	s_or_b32 s26, s26, s27
	s_mov_b32 s28, -1
	s_or_b32 s24, s24, exec_lo
	s_and_saveexec_b32 s27, s26
	s_cbranch_execz .LBB0_962
.LBB0_966:                              ;   in Loop: Header=BB0_963 Depth=3
	s_sleep 1
	s_trap 2
	ds_load_b64 v[4:5], v0
	s_wait_dscnt 0x0
	s_and_not1_b32 s24, s24, exec_lo
	v_cmp_ge_u64_e32 vcc_lo, v[4:5], v[52:53]
	s_or_not1_b32 s28, vcc_lo, exec_lo
	s_branch .LBB0_962
.LBB0_967:                              ;   in Loop: Header=BB0_335 Depth=2
	s_or_b32 exec_lo, exec_lo, s22
	s_and_saveexec_b32 s22, s23
	s_delay_alu instid0(SALU_CYCLE_1)
	s_xor_b32 s22, exec_lo, s22
	s_cbranch_execz .LBB0_969
; %bb.968:                              ;   in Loop: Header=BB0_335 Depth=2
	ds_store_b32 v0, v1
	s_trap 2
.LBB0_969:                              ;   in Loop: Header=BB0_335 Depth=2
	s_or_b32 exec_lo, exec_lo, s21
	;;#ASMSTART
	s_wakeup
	;;#ASMEND
.LBB0_970:                              ;   in Loop: Header=BB0_335 Depth=2
	s_or_b32 exec_lo, exec_lo, s20
.LBB0_971:                              ;   in Loop: Header=BB0_335 Depth=2
	s_and_not1_saveexec_b32 s19, s19
	s_cbranch_execz .LBB0_973
; %bb.972:                              ;   in Loop: Header=BB0_335 Depth=2
	global_wb scope:SCOPE_DEV
	s_wait_storecnt 0x0
	s_wait_loadcnt_dscnt 0x0
	global_inv scope:SCOPE_DEV
	s_barrier_signal -1
	s_barrier_wait -1
.LBB0_973:                              ;   in Loop: Header=BB0_335 Depth=2
	s_or_b32 exec_lo, exec_lo, s19
	s_delay_alu instid0(SALU_CYCLE_1)
	s_or_b32 exec_lo, exec_lo, s8
	s_and_saveexec_b32 s8, s6
	s_cbranch_execnz .LBB0_373
	s_branch .LBB0_374
.LBB0_974:                              ;   in Loop: Header=BB0_46 Depth=1
	s_delay_alu instid0(VALU_DEP_1)
	v_mov_b64_e32 v[16:17], v[114:115]
	s_and_saveexec_b32 s8, s7
	s_cbranch_execnz .LBB0_977
; %bb.975:                              ;   in Loop: Header=BB0_46 Depth=1
	s_or_b32 exec_lo, exec_lo, s8
	s_and_saveexec_b32 s7, s3
	s_cbranch_execnz .LBB0_1574
.LBB0_976:                              ;   in Loop: Header=BB0_46 Depth=1
	s_or_b32 exec_lo, exec_lo, s7
	s_and_saveexec_b32 s7, s6
	s_cbranch_execz .LBB0_45
	s_branch .LBB0_1592
.LBB0_977:                              ;   in Loop: Header=BB0_46 Depth=1
	flat_load_b32 v4, v[22:23]
	v_add_nc_u64_e32 v[2:3], v[10:11], v[112:113]
	v_dual_mov_b32 v116, v0 :: v_dual_bitop2_b32 v5, 7, v34 bitop3:0x40
	s_mov_b32 s18, 0
	v_add_nc_u32_e32 v42, 1, v34
	s_wait_loadcnt_dscnt 0x0
	s_delay_alu instid0(VALU_DEP_3) | instskip(SKIP_1) | instid1(VALU_DEP_2)
	v_mad_nc_u64_u32 v[2:3], v68, v4, v[2:3]
	v_ashrrev_i32_e32 v18, 31, v4
	v_mad_u32 v3, v69, v4, v3
	v_mul_lo_u32 v4, v5, s15
	s_delay_alu instid0(VALU_DEP_2) | instskip(NEXT) | instid1(VALU_DEP_2)
	v_mad_u32 v3, v68, v18, v3
	v_ashrrev_i32_e32 v5, 31, v4
	v_add_nc_u64_e32 v[18:19], v[8:9], v[112:113]
	s_delay_alu instid0(VALU_DEP_2) | instskip(NEXT) | instid1(VALU_DEP_4)
	v_lshl_add_u64 v[114:115], v[4:5], 4, v[32:33]
	v_add_nc_u64_e32 v[112:113], v[2:3], v[84:85]
	s_branch .LBB0_979
.LBB0_978:                              ;   in Loop: Header=BB0_979 Depth=2
	v_dual_sub_nc_u32 v61, v61, v86 :: v_dual_add_nc_u32 v116, v116, v20
	v_add_nc_u64_e32 v[112:113], v[112:113], v[86:87]
	s_wait_xcnt 0x0
	v_add_nc_u64_e32 v[18:19], v[18:19], v[86:87]
	s_delay_alu instid0(VALU_DEP_3) | instskip(SKIP_1) | instid1(SALU_CYCLE_1)
	v_cmp_gt_i32_e32 vcc_lo, 1, v61
	s_or_b32 s18, vcc_lo, s18
	s_and_not1_b32 exec_lo, exec_lo, s18
	s_cbranch_execz .LBB0_1573
.LBB0_979:                              ;   Parent Loop BB0_46 Depth=1
                                        ; =>  This Loop Header: Depth=2
                                        ;       Child Loop BB0_987 Depth 3
	s_delay_alu instid0(VALU_DEP_1)
	v_dual_mov_b32 v3, v113 :: v_dual_bitop2_b32 v2, -4, v112 bitop3:0x40
	v_min_u32_e32 v4, 8, v61
	v_dual_mov_b32 v43, 0 :: v_dual_bitop2_b32 v5, 3, v112 bitop3:0x40
	v_mov_b32_e32 v45, 0
	global_load_b32 v30, v[2:3], off th:TH_LOAD_NT
	s_mov_b32 s7, exec_lo
	v_add_nc_u32_e32 v64, v5, v4
	s_wait_xcnt 0x0
	s_delay_alu instid0(VALU_DEP_1)
	v_cmpx_lt_u32_e32 4, v64
	s_cbranch_execz .LBB0_981
; %bb.980:                              ;   in Loop: Header=BB0_979 Depth=2
	global_load_b32 v45, v[2:3], off offset:4 th:TH_LOAD_NT
.LBB0_981:                              ;   in Loop: Header=BB0_979 Depth=2
	s_wait_xcnt 0x0
	s_or_b32 exec_lo, exec_lo, s7
	s_delay_alu instid0(SALU_CYCLE_1)
	s_mov_b32 s7, exec_lo
	v_cmpx_lt_u64_e32 8, v[64:65]
	s_cbranch_execz .LBB0_983
; %bb.982:                              ;   in Loop: Header=BB0_979 Depth=2
	global_load_b32 v43, v[2:3], off offset:8 th:TH_LOAD_NT
.LBB0_983:                              ;   in Loop: Header=BB0_979 Depth=2
	s_wait_xcnt 0x0
	s_or_b32 exec_lo, exec_lo, s7
	v_mov_b32_e32 v117, v65
	v_cmp_eq_u32_e32 vcc_lo, 0, v60
	v_mov_b32_e32 v60, 1
	s_delay_alu instid0(VALU_DEP_3)
	v_lshl_add_u64 v[118:119], v[116:117], 4, v[114:115]
	global_load_b128 v[2:5], v[118:119], off th:TH_LOAD_NT
	s_wait_xcnt 0x0
	s_and_saveexec_b32 s19, vcc_lo
	s_cbranch_execz .LBB0_995
; %bb.984:                              ;   in Loop: Header=BB0_979 Depth=2
	s_wait_loadcnt 0x0
	v_cmp_ne_u32_e32 vcc_lo, v42, v3
	v_cmp_ne_u32_e64 s7, v42, v5
	v_mov_b32_e32 v60, 0
	s_or_b32 s7, vcc_lo, s7
	s_delay_alu instid0(SALU_CYCLE_1)
	s_and_saveexec_b32 s20, s7
	s_cbranch_execz .LBB0_994
; %bb.985:                              ;   in Loop: Header=BB0_979 Depth=2
	s_mov_b32 s24, 1
	s_mov_b32 s22, 0
                                        ; implicit-def: $sgpr21
                                        ; implicit-def: $sgpr23
	s_branch .LBB0_987
.LBB0_986:                              ;   in Loop: Header=BB0_987 Depth=3
	s_or_b32 exec_lo, exec_lo, s26
	s_delay_alu instid0(SALU_CYCLE_1) | instskip(NEXT) | instid1(SALU_CYCLE_1)
	s_and_b32 s7, exec_lo, s7
	s_or_b32 s22, s7, s22
	s_and_not1_b32 s7, s21, exec_lo
	s_and_b32 s21, s23, exec_lo
	s_delay_alu instid0(SALU_CYCLE_1)
	s_or_b32 s21, s7, s21
	s_and_not1_b32 exec_lo, exec_lo, s22
	s_cbranch_execz .LBB0_991
.LBB0_987:                              ;   Parent Loop BB0_46 Depth=1
                                        ;     Parent Loop BB0_979 Depth=2
                                        ; =>    This Inner Loop Header: Depth=3
	s_wait_loadcnt 0x0
	global_load_b128 v[2:5], v[118:119], off th:TH_LOAD_NT
	s_add_co_i32 s24, s24, 1
	s_mov_b32 s7, -1
	s_cmp_lg_u32 s24, 0x2710
	s_mov_b32 s25, -1
                                        ; implicit-def: $vgpr64
	s_cbranch_scc0 .LBB0_989
; %bb.988:                              ;   in Loop: Header=BB0_987 Depth=3
	s_or_b32 s23, s23, exec_lo
	s_wait_xcnt 0x0
	s_and_saveexec_b32 s26, s25
	s_cbranch_execz .LBB0_986
	s_branch .LBB0_990
.LBB0_989:                              ;   in Loop: Header=BB0_987 Depth=3
	s_trap 2
	ds_load_b64 v[40:41], v0
	s_mov_b32 s24, 0
	s_wait_storecnt 0x0
	s_wait_loadcnt_dscnt 0x0
	flat_load_b32 v64, v[40:41] scope:SCOPE_SYS
	s_wait_loadcnt_dscnt 0x0
	global_inv scope:SCOPE_SYS
	v_cmp_eq_u32_e32 vcc_lo, 0, v64
	s_or_not1_b32 s25, vcc_lo, exec_lo
	s_or_b32 s23, s23, exec_lo
	s_wait_xcnt 0x0
	s_and_saveexec_b32 s26, s25
	s_cbranch_execz .LBB0_986
.LBB0_990:                              ;   in Loop: Header=BB0_987 Depth=3
	s_wait_loadcnt 0x0
	v_cmp_eq_u32_e32 vcc_lo, v42, v3
	v_cmp_eq_u32_e64 s7, v42, v5
	s_and_not1_b32 s23, s23, exec_lo
	s_and_b32 s7, vcc_lo, s7
	s_delay_alu instid0(SALU_CYCLE_1)
	s_or_not1_b32 s7, s7, exec_lo
	s_branch .LBB0_986
.LBB0_991:                              ;   in Loop: Header=BB0_979 Depth=2
	s_or_b32 exec_lo, exec_lo, s22
	v_mov_b32_e32 v60, 0
	s_and_saveexec_b32 s7, s21
	s_delay_alu instid0(SALU_CYCLE_1)
	s_xor_b32 s7, exec_lo, s7
	s_cbranch_execz .LBB0_993
; %bb.992:                              ;   in Loop: Header=BB0_979 Depth=2
	v_mov_b32_e32 v60, 1
	s_wait_loadcnt 0x0
	s_wait_storecnt 0x0
	ds_store_b32 v0, v64
	s_trap 2
.LBB0_993:                              ;   in Loop: Header=BB0_979 Depth=2
	s_or_b32 exec_lo, exec_lo, s7
.LBB0_994:                              ;   in Loop: Header=BB0_979 Depth=2
	s_delay_alu instid0(SALU_CYCLE_1)
	s_or_b32 exec_lo, exec_lo, s20
.LBB0_995:                              ;   in Loop: Header=BB0_979 Depth=2
	s_delay_alu instid0(SALU_CYCLE_1) | instskip(SKIP_2) | instid1(VALU_DEP_1)
	s_or_b32 exec_lo, exec_lo, s19
	v_lshlrev_b32_e32 v46, 3, v112
	s_wait_loadcnt 0x1
	v_alignbit_b32 v64, v45, v30, v46
	s_delay_alu instid0(VALU_DEP_1) | instskip(NEXT) | instid1(VALU_DEP_1)
	v_and_b32_e32 v30, 0xff, v64
	v_cmp_ne_u16_e32 vcc_lo, 0, v30
	v_mov_b32_e32 v30, 0
	s_and_saveexec_b32 s7, vcc_lo
	s_cbranch_execz .LBB0_1005
; %bb.996:                              ;   in Loop: Header=BB0_979 Depth=2
	v_bfe_i32 v118, v64, 0, 8
	v_bfrev_b32_e32 v30, 1
	s_mov_b32 s19, exec_lo
	s_delay_alu instid0(VALU_DEP_2)
	v_cmpx_ne_u16_e32 0xff80, v118
	s_cbranch_execz .LBB0_1004
; %bb.997:                              ;   in Loop: Header=BB0_979 Depth=2
	v_and_b32_e32 v30, 0x7c, v64
	v_and_b32_e32 v117, 3, v64
	s_delay_alu instid0(VALU_DEP_2) | instskip(SKIP_1) | instid1(SALU_CYCLE_1)
	v_cmp_ne_u32_e32 vcc_lo, 0x7c, v30
                                        ; implicit-def: $vgpr30
	s_and_saveexec_b32 s20, vcc_lo
	s_xor_b32 s20, exec_lo, s20
	s_cbranch_execz .LBB0_1001
; %bb.998:                              ;   in Loop: Header=BB0_979 Depth=2
	v_bfe_u32 v30, v64, 2, 5
	s_mov_b32 s21, exec_lo
	s_delay_alu instid0(VALU_DEP_1)
	v_cmpx_eq_u32_e32 0, v30
; %bb.999:                              ;   in Loop: Header=BB0_979 Depth=2
	v_clz_i32_u32_e32 v30, v117
	s_delay_alu instid0(VALU_DEP_1) | instskip(NEXT) | instid1(VALU_DEP_1)
	v_min_u32_e32 v30, 32, v30
	v_subrev_nc_u32_e32 v117, 29, v30
	v_sub_nc_u32_e32 v30, 30, v30
	s_delay_alu instid0(VALU_DEP_2) | instskip(NEXT) | instid1(VALU_DEP_1)
	v_lshlrev_b64_e32 v[118:119], v117, v[64:65]
	v_and_b32_e32 v117, 3, v118
; %bb.1000:                             ;   in Loop: Header=BB0_979 Depth=2
	s_or_b32 exec_lo, exec_lo, s21
	v_lshlrev_b32_e32 v118, 24, v64
	s_delay_alu instid0(VALU_DEP_1) | instskip(NEXT) | instid1(VALU_DEP_1)
	v_and_b32_e32 v118, 0x80000000, v118
	v_lshl_add_u32 v30, v30, 23, v118
                                        ; implicit-def: $vgpr118
	s_delay_alu instid0(VALU_DEP_1) | instskip(NEXT) | instid1(VALU_DEP_1)
	v_lshl_or_b32 v30, v117, 21, v30
                                        ; implicit-def: $vgpr117
	v_add_nc_u32_e32 v30, 0x38000000, v30
.LBB0_1001:                             ;   in Loop: Header=BB0_979 Depth=2
	s_and_not1_saveexec_b32 s20, s20
; %bb.1002:                             ;   in Loop: Header=BB0_979 Depth=2
	v_cmp_lt_i16_e32 vcc_lo, -1, v118
	v_cndmask_b32_e32 v30, 0xff800000, v21, vcc_lo
	v_cmp_eq_u32_e32 vcc_lo, 0, v117
	s_delay_alu instid0(VALU_DEP_2)
	v_cndmask_b32_e32 v30, 0x7f800001, v30, vcc_lo
; %bb.1003:                             ;   in Loop: Header=BB0_979 Depth=2
	s_or_b32 exec_lo, exec_lo, s20
.LBB0_1004:                             ;   in Loop: Header=BB0_979 Depth=2
	s_delay_alu instid0(SALU_CYCLE_1)
	s_or_b32 exec_lo, exec_lo, s19
.LBB0_1005:                             ;   in Loop: Header=BB0_979 Depth=2
	s_delay_alu instid0(SALU_CYCLE_1) | instskip(NEXT) | instid1(VALU_DEP_1)
	s_or_b32 exec_lo, exec_lo, s7
	v_dual_mul_f32 v40, v56, v30 :: v_dual_mov_b32 v63, v65
	v_mov_b32_e32 v119, v65
                                        ; implicit-def: $vgpr117
	s_mov_b32 s7, exec_lo
	s_delay_alu instid0(VALU_DEP_2) | instskip(SKIP_2) | instid1(VALU_DEP_3)
	v_and_b32_e32 v62, 0x7f800000, v40
	v_and_b32_e32 v118, 0x7fffff, v40
	v_lshrrev_b32_e32 v30, 24, v40
	v_cmpx_ne_u64_e32 0x7f800000, v[62:63]
	s_xor_b32 s19, exec_lo, s7
	s_cbranch_execz .LBB0_1019
; %bb.1006:                             ;   in Loop: Header=BB0_979 Depth=2
	v_and_b32_e32 v62, 0x7fffffff, v40
	v_mov_b32_e32 v63, v65
	v_and_b32_e32 v30, 0x80, v30
                                        ; implicit-def: $vgpr117
	s_mov_b32 s7, exec_lo
	s_delay_alu instid0(VALU_DEP_2)
	v_cmpx_gt_u64_e32 0x47600001, v[62:63]
	s_xor_b32 s20, exec_lo, s7
	s_cbranch_execz .LBB0_1016
; %bb.1007:                             ;   in Loop: Header=BB0_979 Depth=2
	v_mov_b32_e32 v117, 0
	s_mov_b32 s21, exec_lo
	v_cmpx_ne_u32_e32 0, v40
	s_cbranch_execz .LBB0_1015
; %bb.1008:                             ;   in Loop: Header=BB0_979 Depth=2
	v_bfe_u32 v117, v40, 23, 8
	v_or_b32_e32 v47, 0x800000, v118
	s_delay_alu instid0(VALU_DEP_2) | instskip(SKIP_1) | instid1(VALU_DEP_2)
	v_sub_nc_u32_e32 v40, 0x71, v117
	v_cmp_gt_u32_e32 vcc_lo, 0x72, v117
	v_cndmask_b32_e32 v40, 0, v40, vcc_lo
	v_cmp_eq_u32_e32 vcc_lo, 0, v117
	v_cndmask_b32_e32 v118, v47, v118, vcc_lo
	s_delay_alu instid0(VALU_DEP_3) | instskip(NEXT) | instid1(VALU_DEP_1)
	v_cndmask_b32_e64 v44, v40, 0x70, vcc_lo
	v_dual_add_nc_u32 v40, 21, v44 :: v_dual_add_nc_u32 v62, 20, v44
	s_delay_alu instid0(VALU_DEP_1) | instskip(NEXT) | instid1(VALU_DEP_2)
	v_lshlrev_b64_e64 v[40:41], v40, -1
	v_lshlrev_b64_e64 v[62:63], v62, 1
	s_delay_alu instid0(VALU_DEP_2) | instskip(SKIP_1) | instid1(VALU_DEP_4)
	v_bfi_b32 v40, v40, 0, v118
	v_lshrrev_b64 v[118:119], v44, v[118:119]
	v_bfi_b32 v41, v41, 0, 0
	s_delay_alu instid0(VALU_DEP_1) | instskip(NEXT) | instid1(VALU_DEP_3)
	v_cmp_eq_u64_e64 s7, v[40:41], v[62:63]
	v_mov_b64_e32 v[40:41], v[118:119]
	s_and_saveexec_b32 s22, s7
; %bb.1009:                             ;   in Loop: Header=BB0_979 Depth=2
	v_bfe_u32 v40, v118, 21, 1
	v_mov_b32_e32 v41, v65
	s_delay_alu instid0(VALU_DEP_1) | instskip(NEXT) | instid1(VALU_DEP_1)
	v_add_nc_u64_e32 v[40:41], v[118:119], v[40:41]
	v_add_nc_u64_e32 v[40:41], -1, v[40:41]
; %bb.1010:                             ;   in Loop: Header=BB0_979 Depth=2
	s_or_b32 exec_lo, exec_lo, s22
	v_add_nc_u32_e32 v117, 0xffffff81, v117
	v_lshrrev_b32_e32 v119, 23, v118
	s_mov_b32 s7, exec_lo
	s_delay_alu instid0(VALU_DEP_2) | instskip(NEXT) | instid1(VALU_DEP_1)
	v_cndmask_b32_e64 v117, v117, 0xffffff82, vcc_lo
	v_add3_u32 v41, v44, v117, v119
	v_and_b32_e32 v117, 0x1fffff, v40
	s_delay_alu instid0(VALU_DEP_2) | instskip(NEXT) | instid1(VALU_DEP_2)
	v_dual_mov_b32 v119, v65 :: v_dual_add_nc_u32 v40, 14, v41
	v_add_nc_u32_e32 v118, v117, v118
                                        ; implicit-def: $vgpr117
	s_delay_alu instid0(VALU_DEP_2)
	v_cmpx_ne_u32_e32 0, v40
	s_xor_b32 s7, exec_lo, s7
; %bb.1011:                             ;   in Loop: Header=BB0_979 Depth=2
	s_delay_alu instid0(VALU_DEP_2) | instskip(SKIP_1) | instid1(VALU_DEP_1)
	v_cmp_lt_u64_e32 vcc_lo, 0xffffff, v[118:119]
	v_add_nc_u32_e32 v117, 15, v41
	v_cndmask_b32_e32 v117, v40, v117, vcc_lo
	v_cndmask_b32_e64 v40, 0, 1, vcc_lo
	s_delay_alu instid0(VALU_DEP_1)
	v_lshrrev_b64 v[118:119], v40, v[118:119]
; %bb.1012:                             ;   in Loop: Header=BB0_979 Depth=2
	s_and_not1_saveexec_b32 s7, s7
; %bb.1013:                             ;   in Loop: Header=BB0_979 Depth=2
	s_delay_alu instid0(VALU_DEP_1)
	v_bfe_u32 v117, v118, 23, 1
; %bb.1014:                             ;   in Loop: Header=BB0_979 Depth=2
	s_or_b32 exec_lo, exec_lo, s7
	s_delay_alu instid0(VALU_DEP_2) | instskip(NEXT) | instid1(VALU_DEP_2)
	v_lshrrev_b64 v[118:119], 21, v[118:119]
	v_cmp_gt_i32_e32 vcc_lo, 32, v117
	v_min_i32_e32 v40, 31, v117
	v_cmp_eq_u32_e64 s7, 0, v117
	s_delay_alu instid0(VALU_DEP_2) | instskip(SKIP_1) | instid1(VALU_DEP_2)
	v_dual_cndmask_b32 v119, 0, v119 :: v_dual_lshlrev_b32 v40, 2, v40
	v_cndmask_b32_e32 v118, 3, v118, vcc_lo
	v_and_b32_e32 v40, 0xfc, v40
	s_delay_alu instid0(VALU_DEP_2) | instskip(NEXT) | instid1(VALU_DEP_2)
	v_cmp_eq_u64_e32 vcc_lo, 0, v[118:119]
	v_and_or_b32 v117, v118, 3, v40
	s_and_b32 s7, s7, vcc_lo
	s_delay_alu instid0(VALU_DEP_1) | instid1(SALU_CYCLE_1)
	v_cndmask_b32_e64 v117, v117, 0, s7
	s_delay_alu instid0(VALU_DEP_1)
	v_or_b32_e32 v117, v117, v30
.LBB0_1015:                             ;   in Loop: Header=BB0_979 Depth=2
	s_or_b32 exec_lo, exec_lo, s21
                                        ; implicit-def: $vgpr30
.LBB0_1016:                             ;   in Loop: Header=BB0_979 Depth=2
	s_and_not1_saveexec_b32 s7, s20
; %bb.1017:                             ;   in Loop: Header=BB0_979 Depth=2
	v_or_b32_e32 v117, 0x7b, v30
; %bb.1018:                             ;   in Loop: Header=BB0_979 Depth=2
	s_or_b32 exec_lo, exec_lo, s7
                                        ; implicit-def: $vgpr40
                                        ; implicit-def: $vgpr118_vgpr119
                                        ; implicit-def: $vgpr30
.LBB0_1019:                             ;   in Loop: Header=BB0_979 Depth=2
	s_and_not1_saveexec_b32 s7, s19
	s_cbranch_execz .LBB0_1025
; %bb.1020:                             ;   in Loop: Header=BB0_979 Depth=2
	s_mov_b32 s19, exec_lo
                                        ; implicit-def: $vgpr117
	v_cmpx_ne_u64_e32 0, v[118:119]
	s_xor_b32 s19, exec_lo, s19
; %bb.1021:                             ;   in Loop: Header=BB0_979 Depth=2
	v_or_b32_e32 v117, 0x7f, v30
                                        ; implicit-def: $vgpr40
; %bb.1022:                             ;   in Loop: Header=BB0_979 Depth=2
	s_and_not1_saveexec_b32 s19, s19
; %bb.1023:                             ;   in Loop: Header=BB0_979 Depth=2
	v_cmp_lt_i32_e32 vcc_lo, -1, v40
	v_cndmask_b32_e32 v117, 0xfc, v59, vcc_lo
; %bb.1024:                             ;   in Loop: Header=BB0_979 Depth=2
	s_or_b32 exec_lo, exec_lo, s19
.LBB0_1025:                             ;   in Loop: Header=BB0_979 Depth=2
	s_delay_alu instid0(SALU_CYCLE_1) | instskip(SKIP_3) | instid1(VALU_DEP_2)
	s_or_b32 exec_lo, exec_lo, s7
	v_lshrrev_b16 v118, 8, v64
	v_mov_b32_e32 v119, 0
	s_mov_b32 s7, exec_lo
	v_cmpx_ne_u16_e32 0, v118
	s_cbranch_execz .LBB0_1035
; %bb.1026:                             ;   in Loop: Header=BB0_979 Depth=2
	v_bfrev_b32_e32 v119, 1
	s_mov_b32 s19, exec_lo
	v_cmpx_ne_u16_e32 0x80, v118
	s_cbranch_execz .LBB0_1034
; %bb.1027:                             ;   in Loop: Header=BB0_979 Depth=2
	v_and_b32_e32 v40, 0xffff, v118
	s_delay_alu instid0(VALU_DEP_1) | instskip(SKIP_1) | instid1(VALU_DEP_2)
	v_and_b32_e32 v119, 0x7c, v40
	v_and_b32_e32 v30, 3, v40
	v_cmp_ne_u32_e32 vcc_lo, 0x7c, v119
                                        ; implicit-def: $vgpr119
	s_and_saveexec_b32 s20, vcc_lo
	s_delay_alu instid0(SALU_CYCLE_1)
	s_xor_b32 s20, exec_lo, s20
	s_cbranch_execz .LBB0_1031
; %bb.1028:                             ;   in Loop: Header=BB0_979 Depth=2
	v_bfe_u32 v119, v40, 2, 5
	s_mov_b32 s21, exec_lo
	s_delay_alu instid0(VALU_DEP_1)
	v_cmpx_eq_u32_e32 0, v119
	s_cbranch_execz .LBB0_1030
; %bb.1029:                             ;   in Loop: Header=BB0_979 Depth=2
	v_clz_i32_u32_e32 v30, v30
	v_mov_b32_e32 v119, v65
	s_delay_alu instid0(VALU_DEP_2) | instskip(NEXT) | instid1(VALU_DEP_1)
	v_min_u32_e32 v30, 32, v30
	v_subrev_nc_u32_e32 v40, 29, v30
	s_delay_alu instid0(VALU_DEP_1) | instskip(SKIP_1) | instid1(VALU_DEP_2)
	v_lshlrev_b64_e32 v[118:119], v40, v[118:119]
	v_sub_nc_u32_e32 v119, 30, v30
	v_and_b32_e32 v30, 3, v118
.LBB0_1030:                             ;   in Loop: Header=BB0_979 Depth=2
	s_or_b32 exec_lo, exec_lo, s21
	v_lshlrev_b32_e32 v118, 16, v64
	s_delay_alu instid0(VALU_DEP_1) | instskip(NEXT) | instid1(VALU_DEP_1)
	v_and_b32_e32 v118, 0x80000000, v118
	v_lshl_add_u32 v118, v119, 23, v118
	s_delay_alu instid0(VALU_DEP_1) | instskip(NEXT) | instid1(VALU_DEP_1)
	v_lshl_or_b32 v30, v30, 21, v118
	v_add_nc_u32_e32 v119, 0x38000000, v30
                                        ; implicit-def: $vgpr30
.LBB0_1031:                             ;   in Loop: Header=BB0_979 Depth=2
	s_and_not1_saveexec_b32 s20, s20
; %bb.1032:                             ;   in Loop: Header=BB0_979 Depth=2
	v_cmp_lt_i16_e32 vcc_lo, -1, v64
	v_cndmask_b32_e32 v118, 0xff800000, v21, vcc_lo
	v_cmp_eq_u32_e32 vcc_lo, 0, v30
	s_delay_alu instid0(VALU_DEP_2)
	v_cndmask_b32_e32 v119, 0x7f800001, v118, vcc_lo
; %bb.1033:                             ;   in Loop: Header=BB0_979 Depth=2
	s_or_b32 exec_lo, exec_lo, s20
.LBB0_1034:                             ;   in Loop: Header=BB0_979 Depth=2
	s_delay_alu instid0(SALU_CYCLE_1)
	s_or_b32 exec_lo, exec_lo, s19
.LBB0_1035:                             ;   in Loop: Header=BB0_979 Depth=2
	s_delay_alu instid0(SALU_CYCLE_1) | instskip(NEXT) | instid1(VALU_DEP_1)
	s_or_b32 exec_lo, exec_lo, s7
	v_dual_mul_f32 v40, v56, v119 :: v_dual_mov_b32 v63, v65
	v_mov_b32_e32 v119, v65
                                        ; implicit-def: $vgpr44
	s_mov_b32 s7, exec_lo
	s_delay_alu instid0(VALU_DEP_2) | instskip(SKIP_2) | instid1(VALU_DEP_3)
	v_and_b32_e32 v62, 0x7f800000, v40
	v_and_b32_e32 v118, 0x7fffff, v40
	v_lshrrev_b32_e32 v30, 24, v40
	v_cmpx_ne_u64_e32 0x7f800000, v[62:63]
	s_xor_b32 s19, exec_lo, s7
	s_cbranch_execz .LBB0_1049
; %bb.1036:                             ;   in Loop: Header=BB0_979 Depth=2
	v_and_b32_e32 v62, 0x7fffffff, v40
	v_mov_b32_e32 v63, v65
	v_and_b32_e32 v30, 0x80, v30
                                        ; implicit-def: $vgpr44
	s_mov_b32 s7, exec_lo
	s_delay_alu instid0(VALU_DEP_2)
	v_cmpx_gt_u64_e32 0x47600001, v[62:63]
	s_xor_b32 s20, exec_lo, s7
	s_cbranch_execz .LBB0_1046
; %bb.1037:                             ;   in Loop: Header=BB0_979 Depth=2
	v_mov_b32_e32 v44, 0
	s_mov_b32 s21, exec_lo
	v_cmpx_ne_u32_e32 0, v40
	s_cbranch_execz .LBB0_1045
; %bb.1038:                             ;   in Loop: Header=BB0_979 Depth=2
	v_bfe_u32 v44, v40, 23, 8
	v_or_b32_e32 v62, 0x800000, v118
	s_delay_alu instid0(VALU_DEP_2) | instskip(SKIP_1) | instid1(VALU_DEP_2)
	v_sub_nc_u32_e32 v40, 0x71, v44
	v_cmp_gt_u32_e32 vcc_lo, 0x72, v44
	v_cndmask_b32_e32 v40, 0, v40, vcc_lo
	v_cmp_eq_u32_e32 vcc_lo, 0, v44
	s_delay_alu instid0(VALU_DEP_2) | instskip(NEXT) | instid1(VALU_DEP_1)
	v_cndmask_b32_e64 v47, v40, 0x70, vcc_lo
	v_dual_cndmask_b32 v118, v62, v118, vcc_lo :: v_dual_add_nc_u32 v40, 21, v47
	v_add_nc_u32_e32 v63, 20, v47
	s_delay_alu instid0(VALU_DEP_2) | instskip(NEXT) | instid1(VALU_DEP_2)
	v_lshlrev_b64_e64 v[40:41], v40, -1
	v_lshlrev_b64_e64 v[62:63], v63, 1
	s_delay_alu instid0(VALU_DEP_2) | instskip(SKIP_1) | instid1(VALU_DEP_4)
	v_bfi_b32 v40, v40, 0, v118
	v_lshrrev_b64 v[118:119], v47, v[118:119]
	v_bfi_b32 v41, v41, 0, 0
	s_delay_alu instid0(VALU_DEP_1) | instskip(NEXT) | instid1(VALU_DEP_3)
	v_cmp_eq_u64_e64 s7, v[40:41], v[62:63]
	v_mov_b64_e32 v[40:41], v[118:119]
	s_and_saveexec_b32 s22, s7
; %bb.1039:                             ;   in Loop: Header=BB0_979 Depth=2
	v_bfe_u32 v40, v118, 21, 1
	v_mov_b32_e32 v41, v65
	s_delay_alu instid0(VALU_DEP_1) | instskip(NEXT) | instid1(VALU_DEP_1)
	v_add_nc_u64_e32 v[40:41], v[118:119], v[40:41]
	v_add_nc_u64_e32 v[40:41], -1, v[40:41]
; %bb.1040:                             ;   in Loop: Header=BB0_979 Depth=2
	s_or_b32 exec_lo, exec_lo, s22
	v_add_nc_u32_e32 v119, 0xffffff81, v44
	v_lshrrev_b32_e32 v41, 23, v118
	s_mov_b32 s7, exec_lo
	s_delay_alu instid0(VALU_DEP_2) | instskip(NEXT) | instid1(VALU_DEP_1)
	v_cndmask_b32_e64 v119, v119, 0xffffff82, vcc_lo
	v_add3_u32 v41, v47, v119, v41
	v_and_b32_e32 v119, 0x1fffff, v40
                                        ; implicit-def: $vgpr40
	s_delay_alu instid0(VALU_DEP_1) | instskip(SKIP_1) | instid1(VALU_DEP_2)
	v_dual_add_nc_u32 v44, 14, v41 :: v_dual_add_nc_u32 v118, v119, v118
	v_mov_b32_e32 v119, v65
	v_cmpx_ne_u32_e32 0, v44
	s_xor_b32 s7, exec_lo, s7
; %bb.1041:                             ;   in Loop: Header=BB0_979 Depth=2
	s_delay_alu instid0(VALU_DEP_2) | instskip(SKIP_2) | instid1(VALU_DEP_2)
	v_cmp_lt_u64_e32 vcc_lo, 0xffffff, v[118:119]
	v_add_nc_u32_e32 v40, 15, v41
	v_cndmask_b32_e64 v41, 0, 1, vcc_lo
	v_cndmask_b32_e32 v40, v44, v40, vcc_lo
	s_delay_alu instid0(VALU_DEP_2)
	v_lshrrev_b64 v[118:119], v41, v[118:119]
; %bb.1042:                             ;   in Loop: Header=BB0_979 Depth=2
	s_and_not1_saveexec_b32 s7, s7
; %bb.1043:                             ;   in Loop: Header=BB0_979 Depth=2
	s_delay_alu instid0(VALU_DEP_1)
	v_bfe_u32 v40, v118, 23, 1
; %bb.1044:                             ;   in Loop: Header=BB0_979 Depth=2
	s_or_b32 exec_lo, exec_lo, s7
	s_delay_alu instid0(VALU_DEP_2) | instskip(NEXT) | instid1(VALU_DEP_2)
	v_lshrrev_b64 v[118:119], 21, v[118:119]
	v_cmp_gt_i32_e32 vcc_lo, 32, v40
	v_min_i32_e32 v41, 31, v40
	v_cmp_eq_u32_e64 s7, 0, v40
	s_delay_alu instid0(VALU_DEP_2) | instskip(SKIP_1) | instid1(VALU_DEP_2)
	v_dual_cndmask_b32 v119, 0, v119, vcc_lo :: v_dual_lshlrev_b32 v41, 2, v41
	v_cndmask_b32_e32 v118, 3, v118, vcc_lo
	v_and_b32_e32 v41, 0xfc, v41
	s_delay_alu instid0(VALU_DEP_2) | instskip(NEXT) | instid1(VALU_DEP_2)
	v_cmp_eq_u64_e32 vcc_lo, 0, v[118:119]
	v_and_or_b32 v118, v118, 3, v41
	s_and_b32 s7, s7, vcc_lo
	s_delay_alu instid0(VALU_DEP_1) | instid1(SALU_CYCLE_1)
	v_cndmask_b32_e64 v118, v118, 0, s7
	s_delay_alu instid0(VALU_DEP_1)
	v_or_b32_e32 v44, v118, v30
.LBB0_1045:                             ;   in Loop: Header=BB0_979 Depth=2
	s_or_b32 exec_lo, exec_lo, s21
                                        ; implicit-def: $vgpr30
.LBB0_1046:                             ;   in Loop: Header=BB0_979 Depth=2
	s_and_not1_saveexec_b32 s7, s20
; %bb.1047:                             ;   in Loop: Header=BB0_979 Depth=2
	v_or_b32_e32 v44, 0x7b, v30
; %bb.1048:                             ;   in Loop: Header=BB0_979 Depth=2
	s_or_b32 exec_lo, exec_lo, s7
                                        ; implicit-def: $vgpr40
                                        ; implicit-def: $vgpr118_vgpr119
                                        ; implicit-def: $vgpr30
.LBB0_1049:                             ;   in Loop: Header=BB0_979 Depth=2
	s_and_not1_saveexec_b32 s7, s19
	s_cbranch_execz .LBB0_1055
; %bb.1050:                             ;   in Loop: Header=BB0_979 Depth=2
	s_mov_b32 s19, exec_lo
                                        ; implicit-def: $vgpr44
	v_cmpx_ne_u64_e32 0, v[118:119]
	s_xor_b32 s19, exec_lo, s19
; %bb.1051:                             ;   in Loop: Header=BB0_979 Depth=2
	v_or_b32_e32 v44, 0x7f, v30
                                        ; implicit-def: $vgpr40
; %bb.1052:                             ;   in Loop: Header=BB0_979 Depth=2
	s_and_not1_saveexec_b32 s19, s19
; %bb.1053:                             ;   in Loop: Header=BB0_979 Depth=2
	v_cmp_lt_i32_e32 vcc_lo, -1, v40
	v_cndmask_b32_e32 v44, 0xfc, v59, vcc_lo
; %bb.1054:                             ;   in Loop: Header=BB0_979 Depth=2
	s_or_b32 exec_lo, exec_lo, s19
.LBB0_1055:                             ;   in Loop: Header=BB0_979 Depth=2
	s_delay_alu instid0(SALU_CYCLE_1) | instskip(SKIP_2) | instid1(VALU_DEP_1)
	s_or_b32 exec_lo, exec_lo, s7
	v_dual_mov_b32 v30, 0 :: v_dual_lshrrev_b32 v119, 16, v64
	s_mov_b32 s7, exec_lo
	v_and_b32_e32 v118, 0xff, v119
	s_delay_alu instid0(VALU_DEP_1)
	v_cmpx_ne_u16_e32 0, v118
	s_cbranch_execz .LBB0_1065
; %bb.1056:                             ;   in Loop: Header=BB0_979 Depth=2
	v_bfrev_b32_e32 v30, 1
	s_mov_b32 s19, exec_lo
	v_cmpx_ne_u16_e32 0x80, v118
	s_cbranch_execz .LBB0_1064
; %bb.1057:                             ;   in Loop: Header=BB0_979 Depth=2
	v_and_b32_e32 v30, 0x7c0000, v64
	v_bfe_u32 v118, v64, 16, 2
	s_delay_alu instid0(VALU_DEP_2) | instskip(SKIP_1) | instid1(SALU_CYCLE_1)
	v_cmp_ne_u32_e32 vcc_lo, 0x7c0000, v30
                                        ; implicit-def: $vgpr30
	s_and_saveexec_b32 s20, vcc_lo
	s_xor_b32 s20, exec_lo, s20
	s_cbranch_execz .LBB0_1061
; %bb.1058:                             ;   in Loop: Header=BB0_979 Depth=2
	v_bfe_u32 v119, v64, 18, 5
	v_lshrrev_b32_e32 v30, 16, v64
	s_mov_b32 s21, exec_lo
	s_delay_alu instid0(VALU_DEP_2)
	v_cmpx_eq_u32_e32 0, v119
; %bb.1059:                             ;   in Loop: Header=BB0_979 Depth=2
	v_clz_i32_u32_e32 v118, v118
	s_delay_alu instid0(VALU_DEP_1) | instskip(NEXT) | instid1(VALU_DEP_1)
	v_min_u32_e32 v40, 32, v118
	v_subrev_nc_u32_e32 v118, 29, v40
	s_delay_alu instid0(VALU_DEP_1) | instskip(NEXT) | instid1(VALU_DEP_1)
	v_lshlrev_b64_e32 v[118:119], v118, v[30:31]
	v_dual_sub_nc_u32 v119, 30, v40 :: v_dual_bitop2_b32 v118, 3, v118 bitop3:0x40
; %bb.1060:                             ;   in Loop: Header=BB0_979 Depth=2
	s_or_b32 exec_lo, exec_lo, s21
	v_lshlrev_b32_e32 v30, 24, v30
	s_delay_alu instid0(VALU_DEP_1) | instskip(NEXT) | instid1(VALU_DEP_1)
	v_and_b32_e32 v30, 0x80000000, v30
	v_lshl_add_u32 v30, v119, 23, v30
                                        ; implicit-def: $vgpr119
	s_delay_alu instid0(VALU_DEP_1) | instskip(NEXT) | instid1(VALU_DEP_1)
	v_lshl_or_b32 v30, v118, 21, v30
                                        ; implicit-def: $vgpr118
	v_add_nc_u32_e32 v30, 0x38000000, v30
.LBB0_1061:                             ;   in Loop: Header=BB0_979 Depth=2
	s_and_not1_saveexec_b32 s20, s20
; %bb.1062:                             ;   in Loop: Header=BB0_979 Depth=2
	v_bfe_i32 v30, v119, 0, 8
	s_delay_alu instid0(VALU_DEP_1) | instskip(SKIP_2) | instid1(VALU_DEP_2)
	v_cmp_lt_i16_e32 vcc_lo, -1, v30
	v_cndmask_b32_e32 v30, 0xff800000, v21, vcc_lo
	v_cmp_eq_u32_e32 vcc_lo, 0, v118
	v_cndmask_b32_e32 v30, 0x7f800001, v30, vcc_lo
; %bb.1063:                             ;   in Loop: Header=BB0_979 Depth=2
	s_or_b32 exec_lo, exec_lo, s20
.LBB0_1064:                             ;   in Loop: Header=BB0_979 Depth=2
	s_delay_alu instid0(SALU_CYCLE_1)
	s_or_b32 exec_lo, exec_lo, s19
.LBB0_1065:                             ;   in Loop: Header=BB0_979 Depth=2
	s_delay_alu instid0(SALU_CYCLE_1) | instskip(NEXT) | instid1(VALU_DEP_1)
	s_or_b32 exec_lo, exec_lo, s7
	v_dual_mul_f32 v40, v56, v30 :: v_dual_mov_b32 v63, v65
	s_delay_alu instid0(VALU_DEP_1) | instskip(SKIP_2) | instid1(VALU_DEP_2)
	v_dual_mov_b32 v119, v65 :: v_dual_lshrrev_b32 v30, 24, v40
	v_and_b32_e32 v62, 0x7f800000, v40
	v_and_b32_e32 v118, 0x7fffff, v40
	v_cmp_ne_u64_e32 vcc_lo, 0x7f800000, v[62:63]
                                        ; implicit-def: $vgpr62
	s_and_saveexec_b32 s7, vcc_lo
	s_delay_alu instid0(SALU_CYCLE_1)
	s_xor_b32 s19, exec_lo, s7
	s_cbranch_execz .LBB0_1079
; %bb.1066:                             ;   in Loop: Header=BB0_979 Depth=2
	v_and_b32_e32 v62, 0x7fffffff, v40
	v_mov_b32_e32 v63, v65
	v_and_b32_e32 v30, 0x80, v30
	s_delay_alu instid0(VALU_DEP_2) | instskip(SKIP_1) | instid1(SALU_CYCLE_1)
	v_cmp_gt_u64_e32 vcc_lo, 0x47600001, v[62:63]
                                        ; implicit-def: $vgpr62
	s_and_saveexec_b32 s7, vcc_lo
	s_xor_b32 s20, exec_lo, s7
	s_cbranch_execz .LBB0_1076
; %bb.1067:                             ;   in Loop: Header=BB0_979 Depth=2
	v_mov_b32_e32 v62, 0
	s_mov_b32 s21, exec_lo
	v_cmpx_ne_u32_e32 0, v40
	s_cbranch_execz .LBB0_1075
; %bb.1068:                             ;   in Loop: Header=BB0_979 Depth=2
	v_bfe_u32 v47, v40, 23, 8
	v_or_b32_e32 v63, 0x800000, v118
	s_delay_alu instid0(VALU_DEP_2) | instskip(SKIP_1) | instid1(VALU_DEP_2)
	v_sub_nc_u32_e32 v40, 0x71, v47
	v_cmp_gt_u32_e32 vcc_lo, 0x72, v47
	v_cndmask_b32_e32 v40, 0, v40, vcc_lo
	v_cmp_eq_u32_e32 vcc_lo, 0, v47
	s_delay_alu instid0(VALU_DEP_2) | instskip(SKIP_1) | instid1(VALU_DEP_2)
	v_cndmask_b32_e64 v62, v40, 0x70, vcc_lo
	v_cndmask_b32_e32 v118, v63, v118, vcc_lo
	v_dual_add_nc_u32 v40, 21, v62 :: v_dual_add_nc_u32 v72, 20, v62
	s_delay_alu instid0(VALU_DEP_1) | instskip(NEXT) | instid1(VALU_DEP_2)
	v_lshlrev_b64_e64 v[40:41], v40, -1
	v_lshlrev_b64_e64 v[72:73], v72, 1
	s_delay_alu instid0(VALU_DEP_2) | instskip(SKIP_1) | instid1(VALU_DEP_4)
	v_bfi_b32 v40, v40, 0, v118
	v_lshrrev_b64 v[118:119], v62, v[118:119]
	v_bfi_b32 v41, v41, 0, 0
	s_delay_alu instid0(VALU_DEP_1) | instskip(NEXT) | instid1(VALU_DEP_3)
	v_cmp_eq_u64_e64 s7, v[40:41], v[72:73]
	v_mov_b64_e32 v[40:41], v[118:119]
	s_and_saveexec_b32 s22, s7
; %bb.1069:                             ;   in Loop: Header=BB0_979 Depth=2
	v_bfe_u32 v40, v118, 21, 1
	v_mov_b32_e32 v41, v65
	s_delay_alu instid0(VALU_DEP_1) | instskip(NEXT) | instid1(VALU_DEP_1)
	v_add_nc_u64_e32 v[40:41], v[118:119], v[40:41]
	v_add_nc_u64_e32 v[40:41], -1, v[40:41]
; %bb.1070:                             ;   in Loop: Header=BB0_979 Depth=2
	s_or_b32 exec_lo, exec_lo, s22
	v_add_nc_u32_e32 v119, 0xffffff81, v47
	v_lshrrev_b32_e32 v41, 23, v118
	s_mov_b32 s7, exec_lo
	s_delay_alu instid0(VALU_DEP_2) | instskip(NEXT) | instid1(VALU_DEP_1)
	v_cndmask_b32_e64 v119, v119, 0xffffff82, vcc_lo
	v_add3_u32 v41, v62, v119, v41
	v_and_b32_e32 v119, 0x1fffff, v40
                                        ; implicit-def: $vgpr40
	s_delay_alu instid0(VALU_DEP_1) | instskip(SKIP_1) | instid1(VALU_DEP_2)
	v_dual_add_nc_u32 v47, 14, v41 :: v_dual_add_nc_u32 v118, v119, v118
	v_mov_b32_e32 v119, v65
	v_cmpx_ne_u32_e32 0, v47
	s_xor_b32 s7, exec_lo, s7
; %bb.1071:                             ;   in Loop: Header=BB0_979 Depth=2
	s_delay_alu instid0(VALU_DEP_2) | instskip(SKIP_2) | instid1(VALU_DEP_2)
	v_cmp_lt_u64_e32 vcc_lo, 0xffffff, v[118:119]
	v_add_nc_u32_e32 v40, 15, v41
	v_cndmask_b32_e64 v41, 0, 1, vcc_lo
	v_cndmask_b32_e32 v40, v47, v40, vcc_lo
	s_delay_alu instid0(VALU_DEP_2)
	v_lshrrev_b64 v[118:119], v41, v[118:119]
; %bb.1072:                             ;   in Loop: Header=BB0_979 Depth=2
	s_and_not1_saveexec_b32 s7, s7
; %bb.1073:                             ;   in Loop: Header=BB0_979 Depth=2
	s_delay_alu instid0(VALU_DEP_1)
	v_bfe_u32 v40, v118, 23, 1
; %bb.1074:                             ;   in Loop: Header=BB0_979 Depth=2
	s_or_b32 exec_lo, exec_lo, s7
	s_delay_alu instid0(VALU_DEP_2) | instskip(NEXT) | instid1(VALU_DEP_2)
	v_lshrrev_b64 v[118:119], 21, v[118:119]
	v_cmp_gt_i32_e32 vcc_lo, 32, v40
	v_min_i32_e32 v41, 31, v40
	v_cmp_eq_u32_e64 s7, 0, v40
	s_delay_alu instid0(VALU_DEP_2) | instskip(SKIP_1) | instid1(VALU_DEP_2)
	v_dual_cndmask_b32 v119, 0, v119, vcc_lo :: v_dual_lshlrev_b32 v41, 2, v41
	v_cndmask_b32_e32 v118, 3, v118, vcc_lo
	v_and_b32_e32 v41, 0xfc, v41
	s_delay_alu instid0(VALU_DEP_2) | instskip(NEXT) | instid1(VALU_DEP_2)
	v_cmp_eq_u64_e32 vcc_lo, 0, v[118:119]
	v_and_or_b32 v118, v118, 3, v41
	s_and_b32 s7, s7, vcc_lo
	s_delay_alu instid0(VALU_DEP_1) | instid1(SALU_CYCLE_1)
	v_cndmask_b32_e64 v118, v118, 0, s7
	s_delay_alu instid0(VALU_DEP_1)
	v_or_b32_e32 v62, v118, v30
.LBB0_1075:                             ;   in Loop: Header=BB0_979 Depth=2
	s_or_b32 exec_lo, exec_lo, s21
                                        ; implicit-def: $vgpr30
.LBB0_1076:                             ;   in Loop: Header=BB0_979 Depth=2
	s_and_not1_saveexec_b32 s7, s20
; %bb.1077:                             ;   in Loop: Header=BB0_979 Depth=2
	v_or_b32_e32 v62, 0x7b, v30
; %bb.1078:                             ;   in Loop: Header=BB0_979 Depth=2
	s_or_b32 exec_lo, exec_lo, s7
                                        ; implicit-def: $vgpr40
                                        ; implicit-def: $vgpr118_vgpr119
                                        ; implicit-def: $vgpr30
.LBB0_1079:                             ;   in Loop: Header=BB0_979 Depth=2
	s_and_not1_saveexec_b32 s7, s19
	s_cbranch_execz .LBB0_1085
; %bb.1080:                             ;   in Loop: Header=BB0_979 Depth=2
	s_mov_b32 s19, exec_lo
                                        ; implicit-def: $vgpr62
	v_cmpx_ne_u64_e32 0, v[118:119]
	s_xor_b32 s19, exec_lo, s19
; %bb.1081:                             ;   in Loop: Header=BB0_979 Depth=2
	v_or_b32_e32 v62, 0x7f, v30
                                        ; implicit-def: $vgpr40
; %bb.1082:                             ;   in Loop: Header=BB0_979 Depth=2
	s_and_not1_saveexec_b32 s19, s19
; %bb.1083:                             ;   in Loop: Header=BB0_979 Depth=2
	v_cmp_lt_i32_e32 vcc_lo, -1, v40
	v_cndmask_b32_e32 v62, 0xfc, v59, vcc_lo
; %bb.1084:                             ;   in Loop: Header=BB0_979 Depth=2
	s_or_b32 exec_lo, exec_lo, s19
.LBB0_1085:                             ;   in Loop: Header=BB0_979 Depth=2
	s_delay_alu instid0(SALU_CYCLE_1)
	s_or_b32 exec_lo, exec_lo, s7
	v_mov_b32_e32 v118, 0
	s_mov_b32 s7, exec_lo
	v_cmpx_lt_u32_e32 0xffffff, v64
	s_cbranch_execz .LBB0_1095
; %bb.1086:                             ;   in Loop: Header=BB0_979 Depth=2
	v_lshrrev_b32_e32 v30, 24, v64
	v_bfrev_b32_e32 v118, 1
	s_mov_b32 s19, exec_lo
	s_delay_alu instid0(VALU_DEP_2)
	v_cmpx_ne_u32_e32 0x80, v30
	s_cbranch_execz .LBB0_1094
; %bb.1087:                             ;   in Loop: Header=BB0_979 Depth=2
	v_and_b32_e32 v118, 0x7c000000, v64
	v_bfe_u32 v119, v64, 24, 2
	s_delay_alu instid0(VALU_DEP_2) | instskip(SKIP_1) | instid1(SALU_CYCLE_1)
	v_cmp_ne_u32_e32 vcc_lo, 0x7c000000, v118
                                        ; implicit-def: $vgpr118
	s_and_saveexec_b32 s20, vcc_lo
	s_xor_b32 s20, exec_lo, s20
	s_cbranch_execz .LBB0_1091
; %bb.1088:                             ;   in Loop: Header=BB0_979 Depth=2
	v_bfe_u32 v118, v64, 26, 5
	s_mov_b32 s21, exec_lo
	s_delay_alu instid0(VALU_DEP_1)
	v_cmpx_eq_u32_e32 0, v118
; %bb.1089:                             ;   in Loop: Header=BB0_979 Depth=2
	v_clz_i32_u32_e32 v118, v119
	s_delay_alu instid0(VALU_DEP_1) | instskip(NEXT) | instid1(VALU_DEP_1)
	v_min_u32_e32 v118, 32, v118
	v_subrev_nc_u32_e32 v119, 29, v118
	s_delay_alu instid0(VALU_DEP_1) | instskip(NEXT) | instid1(VALU_DEP_1)
	v_lshlrev_b64_e32 v[40:41], v119, v[30:31]
	v_dual_sub_nc_u32 v118, 30, v118 :: v_dual_bitop2_b32 v119, 3, v40 bitop3:0x40
; %bb.1090:                             ;   in Loop: Header=BB0_979 Depth=2
	s_or_b32 exec_lo, exec_lo, s21
	v_and_b32_e32 v30, 0x80000000, v64
	s_delay_alu instid0(VALU_DEP_1) | instskip(NEXT) | instid1(VALU_DEP_1)
	v_lshl_add_u32 v30, v118, 23, v30
	v_lshl_or_b32 v30, v119, 21, v30
                                        ; implicit-def: $vgpr119
	s_delay_alu instid0(VALU_DEP_1)
	v_add_nc_u32_e32 v118, 0x38000000, v30
.LBB0_1091:                             ;   in Loop: Header=BB0_979 Depth=2
	s_and_not1_saveexec_b32 s20, s20
; %bb.1092:                             ;   in Loop: Header=BB0_979 Depth=2
	v_cmp_lt_i32_e32 vcc_lo, -1, v64
	v_cndmask_b32_e32 v30, 0xff800000, v21, vcc_lo
	v_cmp_eq_u32_e32 vcc_lo, 0, v119
	s_delay_alu instid0(VALU_DEP_2)
	v_cndmask_b32_e32 v118, 0x7f800001, v30, vcc_lo
; %bb.1093:                             ;   in Loop: Header=BB0_979 Depth=2
	s_or_b32 exec_lo, exec_lo, s20
.LBB0_1094:                             ;   in Loop: Header=BB0_979 Depth=2
	s_delay_alu instid0(SALU_CYCLE_1)
	s_or_b32 exec_lo, exec_lo, s19
.LBB0_1095:                             ;   in Loop: Header=BB0_979 Depth=2
	s_delay_alu instid0(SALU_CYCLE_1) | instskip(NEXT) | instid1(VALU_DEP_1)
	s_or_b32 exec_lo, exec_lo, s7
	v_dual_mul_f32 v118, v56, v118 :: v_dual_mov_b32 v41, v65
                                        ; implicit-def: $vgpr63
	s_mov_b32 s7, exec_lo
	s_delay_alu instid0(VALU_DEP_1) | instskip(SKIP_2) | instid1(VALU_DEP_3)
	v_and_b32_e32 v40, 0x7f800000, v118
	v_and_b32_e32 v64, 0x7fffff, v118
	v_lshrrev_b32_e32 v30, 24, v118
	v_cmpx_ne_u64_e32 0x7f800000, v[40:41]
	s_xor_b32 s19, exec_lo, s7
	s_cbranch_execz .LBB0_1109
; %bb.1096:                             ;   in Loop: Header=BB0_979 Depth=2
	v_and_b32_e32 v40, 0x7fffffff, v118
	v_mov_b32_e32 v41, v65
	v_and_b32_e32 v30, 0x80, v30
                                        ; implicit-def: $vgpr63
	s_mov_b32 s7, exec_lo
	s_delay_alu instid0(VALU_DEP_2)
	v_cmpx_gt_u64_e32 0x47600001, v[40:41]
	s_xor_b32 s20, exec_lo, s7
	s_cbranch_execz .LBB0_1106
; %bb.1097:                             ;   in Loop: Header=BB0_979 Depth=2
	v_mov_b32_e32 v63, 0
	s_mov_b32 s21, exec_lo
	v_cmpx_ne_u32_e32 0, v118
	s_cbranch_execz .LBB0_1105
; %bb.1098:                             ;   in Loop: Header=BB0_979 Depth=2
	v_bfe_u32 v47, v118, 23, 8
	v_or_b32_e32 v40, 0x800000, v64
	s_delay_alu instid0(VALU_DEP_2) | instskip(SKIP_1) | instid1(VALU_DEP_2)
	v_sub_nc_u32_e32 v118, 0x71, v47
	v_cmp_gt_u32_e32 vcc_lo, 0x72, v47
	v_cndmask_b32_e32 v118, 0, v118, vcc_lo
	v_cmp_eq_u32_e32 vcc_lo, 0, v47
	s_delay_alu instid0(VALU_DEP_2) | instskip(NEXT) | instid1(VALU_DEP_1)
	v_cndmask_b32_e64 v63, v118, 0x70, vcc_lo
	v_dual_cndmask_b32 v64, v40, v64, vcc_lo :: v_dual_add_nc_u32 v118, 21, v63
	v_add_nc_u32_e32 v41, 20, v63
	s_delay_alu instid0(VALU_DEP_2) | instskip(NEXT) | instid1(VALU_DEP_2)
	v_lshlrev_b64_e64 v[118:119], v118, -1
	v_lshlrev_b64_e64 v[40:41], v41, 1
	s_delay_alu instid0(VALU_DEP_2) | instskip(NEXT) | instid1(VALU_DEP_3)
	v_bfi_b32 v73, v119, 0, 0
	v_bfi_b32 v72, v118, 0, v64
	v_lshrrev_b64 v[118:119], v63, v[64:65]
	s_delay_alu instid0(VALU_DEP_2) | instskip(NEXT) | instid1(VALU_DEP_2)
	v_cmp_eq_u64_e64 s7, v[72:73], v[40:41]
	v_mov_b64_e32 v[40:41], v[118:119]
	s_and_saveexec_b32 s22, s7
; %bb.1099:                             ;   in Loop: Header=BB0_979 Depth=2
	v_bfe_u32 v64, v118, 21, 1
	s_delay_alu instid0(VALU_DEP_1) | instskip(NEXT) | instid1(VALU_DEP_1)
	v_add_nc_u64_e32 v[40:41], v[118:119], v[64:65]
	v_add_nc_u64_e32 v[40:41], -1, v[40:41]
; %bb.1100:                             ;   in Loop: Header=BB0_979 Depth=2
	s_or_b32 exec_lo, exec_lo, s22
	v_add_nc_u32_e32 v64, 0xffffff81, v47
	v_lshrrev_b32_e32 v119, 23, v118
	s_mov_b32 s7, exec_lo
	s_delay_alu instid0(VALU_DEP_2) | instskip(NEXT) | instid1(VALU_DEP_1)
	v_cndmask_b32_e64 v64, v64, 0xffffff82, vcc_lo
	v_add3_u32 v41, v63, v64, v119
	v_and_b32_e32 v64, 0x1fffff, v40
                                        ; implicit-def: $vgpr40
	s_delay_alu instid0(VALU_DEP_1) | instskip(NEXT) | instid1(VALU_DEP_1)
	v_dual_add_nc_u32 v47, 14, v41 :: v_dual_add_nc_u32 v64, v64, v118
                                        ; implicit-def: $vgpr118_vgpr119
	v_cmpx_ne_u32_e32 0, v47
	s_xor_b32 s7, exec_lo, s7
; %bb.1101:                             ;   in Loop: Header=BB0_979 Depth=2
	s_delay_alu instid0(VALU_DEP_2) | instskip(SKIP_1) | instid1(VALU_DEP_1)
	v_cmp_lt_u64_e32 vcc_lo, 0xffffff, v[64:65]
	v_add_nc_u32_e32 v118, 15, v41
	v_cndmask_b32_e32 v40, v47, v118, vcc_lo
	v_cndmask_b32_e64 v118, 0, 1, vcc_lo
	s_delay_alu instid0(VALU_DEP_1)
	v_lshrrev_b64 v[118:119], v118, v[64:65]
; %bb.1102:                             ;   in Loop: Header=BB0_979 Depth=2
	s_and_not1_saveexec_b32 s7, s7
; %bb.1103:                             ;   in Loop: Header=BB0_979 Depth=2
	v_mov_b64_e32 v[118:119], v[64:65]
	v_bfe_u32 v40, v64, 23, 1
; %bb.1104:                             ;   in Loop: Header=BB0_979 Depth=2
	s_or_b32 exec_lo, exec_lo, s7
	s_delay_alu instid0(VALU_DEP_2) | instskip(NEXT) | instid1(VALU_DEP_2)
	v_lshrrev_b64 v[118:119], 21, v[118:119]
	v_cmp_gt_i32_e32 vcc_lo, 32, v40
	v_min_i32_e32 v64, 31, v40
	v_cmp_eq_u32_e64 s7, 0, v40
	s_delay_alu instid0(VALU_DEP_2) | instskip(SKIP_1) | instid1(VALU_DEP_2)
	v_dual_cndmask_b32 v119, 0, v119 :: v_dual_lshlrev_b32 v64, 2, v64
	v_cndmask_b32_e32 v118, 3, v118, vcc_lo
	v_and_b32_e32 v64, 0xfc, v64
	s_delay_alu instid0(VALU_DEP_2) | instskip(NEXT) | instid1(VALU_DEP_2)
	v_cmp_eq_u64_e32 vcc_lo, 0, v[118:119]
	v_and_or_b32 v64, v118, 3, v64
	s_and_b32 s7, s7, vcc_lo
	s_delay_alu instid0(VALU_DEP_1) | instid1(SALU_CYCLE_1)
	v_cndmask_b32_e64 v64, v64, 0, s7
	s_delay_alu instid0(VALU_DEP_1)
	v_or_b32_e32 v63, v64, v30
.LBB0_1105:                             ;   in Loop: Header=BB0_979 Depth=2
	s_or_b32 exec_lo, exec_lo, s21
                                        ; implicit-def: $vgpr30
.LBB0_1106:                             ;   in Loop: Header=BB0_979 Depth=2
	s_and_not1_saveexec_b32 s7, s20
; %bb.1107:                             ;   in Loop: Header=BB0_979 Depth=2
	v_or_b32_e32 v63, 0x7b, v30
; %bb.1108:                             ;   in Loop: Header=BB0_979 Depth=2
	s_or_b32 exec_lo, exec_lo, s7
                                        ; implicit-def: $vgpr118
                                        ; implicit-def: $vgpr30
.LBB0_1109:                             ;   in Loop: Header=BB0_979 Depth=2
	s_and_not1_saveexec_b32 s7, s19
	s_cbranch_execz .LBB0_1115
; %bb.1110:                             ;   in Loop: Header=BB0_979 Depth=2
	s_mov_b32 s19, exec_lo
                                        ; implicit-def: $vgpr63
	v_cmpx_ne_u64_e32 0, v[64:65]
	s_xor_b32 s19, exec_lo, s19
; %bb.1111:                             ;   in Loop: Header=BB0_979 Depth=2
	v_or_b32_e32 v63, 0x7f, v30
                                        ; implicit-def: $vgpr118
; %bb.1112:                             ;   in Loop: Header=BB0_979 Depth=2
	s_and_not1_saveexec_b32 s19, s19
; %bb.1113:                             ;   in Loop: Header=BB0_979 Depth=2
	v_cmp_lt_i32_e32 vcc_lo, -1, v118
	v_cndmask_b32_e32 v63, 0xfc, v59, vcc_lo
; %bb.1114:                             ;   in Loop: Header=BB0_979 Depth=2
	s_or_b32 exec_lo, exec_lo, s19
.LBB0_1115:                             ;   in Loop: Header=BB0_979 Depth=2
	s_delay_alu instid0(SALU_CYCLE_1) | instskip(SKIP_1) | instid1(VALU_DEP_1)
	s_or_b32 exec_lo, exec_lo, s7
	v_alignbit_b32 v64, v43, v45, v46
	v_and_b32_e32 v30, 0xff, v64
	s_delay_alu instid0(VALU_DEP_1)
	v_cmp_ne_u16_e32 vcc_lo, 0, v30
	v_mov_b32_e32 v30, 0
	s_and_saveexec_b32 s7, vcc_lo
	s_cbranch_execz .LBB0_1125
; %bb.1116:                             ;   in Loop: Header=BB0_979 Depth=2
	v_bfe_i32 v119, v64, 0, 8
	v_bfrev_b32_e32 v30, 1
	s_mov_b32 s19, exec_lo
	s_delay_alu instid0(VALU_DEP_2)
	v_cmpx_ne_u16_e32 0xff80, v119
	s_cbranch_execz .LBB0_1124
; %bb.1117:                             ;   in Loop: Header=BB0_979 Depth=2
	v_and_b32_e32 v30, 0x7c, v64
	v_and_b32_e32 v118, 3, v64
	s_delay_alu instid0(VALU_DEP_2) | instskip(SKIP_1) | instid1(SALU_CYCLE_1)
	v_cmp_ne_u32_e32 vcc_lo, 0x7c, v30
                                        ; implicit-def: $vgpr30
	s_and_saveexec_b32 s20, vcc_lo
	s_xor_b32 s20, exec_lo, s20
	s_cbranch_execz .LBB0_1121
; %bb.1118:                             ;   in Loop: Header=BB0_979 Depth=2
	v_bfe_u32 v30, v64, 2, 5
	s_mov_b32 s21, exec_lo
	s_delay_alu instid0(VALU_DEP_1)
	v_cmpx_eq_u32_e32 0, v30
; %bb.1119:                             ;   in Loop: Header=BB0_979 Depth=2
	v_clz_i32_u32_e32 v30, v118
	s_delay_alu instid0(VALU_DEP_1) | instskip(NEXT) | instid1(VALU_DEP_1)
	v_min_u32_e32 v30, 32, v30
	v_subrev_nc_u32_e32 v118, 29, v30
	v_sub_nc_u32_e32 v30, 30, v30
	s_delay_alu instid0(VALU_DEP_2) | instskip(NEXT) | instid1(VALU_DEP_1)
	v_lshlrev_b64_e32 v[118:119], v118, v[64:65]
	v_and_b32_e32 v118, 3, v118
; %bb.1120:                             ;   in Loop: Header=BB0_979 Depth=2
	s_or_b32 exec_lo, exec_lo, s21
	v_lshlrev_b32_e32 v119, 24, v64
	s_delay_alu instid0(VALU_DEP_1) | instskip(NEXT) | instid1(VALU_DEP_1)
	v_and_b32_e32 v119, 0x80000000, v119
	v_lshl_add_u32 v30, v30, 23, v119
                                        ; implicit-def: $vgpr119
	s_delay_alu instid0(VALU_DEP_1) | instskip(NEXT) | instid1(VALU_DEP_1)
	v_lshl_or_b32 v30, v118, 21, v30
                                        ; implicit-def: $vgpr118
	v_add_nc_u32_e32 v30, 0x38000000, v30
.LBB0_1121:                             ;   in Loop: Header=BB0_979 Depth=2
	s_and_not1_saveexec_b32 s20, s20
; %bb.1122:                             ;   in Loop: Header=BB0_979 Depth=2
	v_cmp_lt_i16_e32 vcc_lo, -1, v119
	v_cndmask_b32_e32 v30, 0xff800000, v21, vcc_lo
	v_cmp_eq_u32_e32 vcc_lo, 0, v118
	s_delay_alu instid0(VALU_DEP_2)
	v_cndmask_b32_e32 v30, 0x7f800001, v30, vcc_lo
; %bb.1123:                             ;   in Loop: Header=BB0_979 Depth=2
	s_or_b32 exec_lo, exec_lo, s20
.LBB0_1124:                             ;   in Loop: Header=BB0_979 Depth=2
	s_delay_alu instid0(SALU_CYCLE_1)
	s_or_b32 exec_lo, exec_lo, s19
.LBB0_1125:                             ;   in Loop: Header=BB0_979 Depth=2
	s_delay_alu instid0(SALU_CYCLE_1) | instskip(NEXT) | instid1(VALU_DEP_1)
	s_or_b32 exec_lo, exec_lo, s7
	v_dual_mul_f32 v40, v56, v30 :: v_dual_mov_b32 v47, v65
	v_mov_b32_e32 v119, v65
                                        ; implicit-def: $vgpr43
	s_mov_b32 s7, exec_lo
	s_delay_alu instid0(VALU_DEP_2) | instskip(SKIP_2) | instid1(VALU_DEP_3)
	v_and_b32_e32 v46, 0x7f800000, v40
	v_and_b32_e32 v118, 0x7fffff, v40
	v_lshrrev_b32_e32 v30, 24, v40
	v_cmpx_ne_u64_e32 0x7f800000, v[46:47]
	s_xor_b32 s19, exec_lo, s7
	s_cbranch_execz .LBB0_1139
; %bb.1126:                             ;   in Loop: Header=BB0_979 Depth=2
	v_and_b32_e32 v46, 0x7fffffff, v40
	v_mov_b32_e32 v47, v65
	v_and_b32_e32 v30, 0x80, v30
                                        ; implicit-def: $vgpr43
	s_mov_b32 s7, exec_lo
	s_delay_alu instid0(VALU_DEP_2)
	v_cmpx_gt_u64_e32 0x47600001, v[46:47]
	s_xor_b32 s20, exec_lo, s7
	s_cbranch_execz .LBB0_1136
; %bb.1127:                             ;   in Loop: Header=BB0_979 Depth=2
	v_mov_b32_e32 v43, 0
	s_mov_b32 s21, exec_lo
	v_cmpx_ne_u32_e32 0, v40
	s_cbranch_execz .LBB0_1135
; %bb.1128:                             ;   in Loop: Header=BB0_979 Depth=2
	v_bfe_u32 v43, v40, 23, 8
	v_or_b32_e32 v46, 0x800000, v118
	s_delay_alu instid0(VALU_DEP_2) | instskip(SKIP_1) | instid1(VALU_DEP_2)
	v_sub_nc_u32_e32 v40, 0x71, v43
	v_cmp_gt_u32_e32 vcc_lo, 0x72, v43
	v_cndmask_b32_e32 v40, 0, v40, vcc_lo
	v_cmp_eq_u32_e32 vcc_lo, 0, v43
	s_delay_alu instid0(VALU_DEP_2) | instskip(NEXT) | instid1(VALU_DEP_1)
	v_cndmask_b32_e64 v45, v40, 0x70, vcc_lo
	v_dual_cndmask_b32 v118, v46, v118, vcc_lo :: v_dual_add_nc_u32 v40, 21, v45
	v_add_nc_u32_e32 v47, 20, v45
	s_delay_alu instid0(VALU_DEP_2) | instskip(NEXT) | instid1(VALU_DEP_2)
	v_lshlrev_b64_e64 v[40:41], v40, -1
	v_lshlrev_b64_e64 v[46:47], v47, 1
	s_delay_alu instid0(VALU_DEP_2) | instskip(SKIP_1) | instid1(VALU_DEP_4)
	v_bfi_b32 v40, v40, 0, v118
	v_lshrrev_b64 v[118:119], v45, v[118:119]
	v_bfi_b32 v41, v41, 0, 0
	s_delay_alu instid0(VALU_DEP_1) | instskip(NEXT) | instid1(VALU_DEP_3)
	v_cmp_eq_u64_e64 s7, v[40:41], v[46:47]
	v_mov_b64_e32 v[40:41], v[118:119]
	s_and_saveexec_b32 s22, s7
; %bb.1129:                             ;   in Loop: Header=BB0_979 Depth=2
	v_bfe_u32 v40, v118, 21, 1
	v_mov_b32_e32 v41, v65
	s_delay_alu instid0(VALU_DEP_1) | instskip(NEXT) | instid1(VALU_DEP_1)
	v_add_nc_u64_e32 v[40:41], v[118:119], v[40:41]
	v_add_nc_u64_e32 v[40:41], -1, v[40:41]
; %bb.1130:                             ;   in Loop: Header=BB0_979 Depth=2
	s_or_b32 exec_lo, exec_lo, s22
	v_add_nc_u32_e32 v119, 0xffffff81, v43
	v_lshrrev_b32_e32 v41, 23, v118
	s_mov_b32 s7, exec_lo
	s_delay_alu instid0(VALU_DEP_2) | instskip(NEXT) | instid1(VALU_DEP_1)
	v_cndmask_b32_e64 v119, v119, 0xffffff82, vcc_lo
	v_add3_u32 v41, v45, v119, v41
	v_and_b32_e32 v119, 0x1fffff, v40
                                        ; implicit-def: $vgpr40
	s_delay_alu instid0(VALU_DEP_1) | instskip(SKIP_1) | instid1(VALU_DEP_2)
	v_dual_add_nc_u32 v43, 14, v41 :: v_dual_add_nc_u32 v118, v119, v118
	v_mov_b32_e32 v119, v65
	v_cmpx_ne_u32_e32 0, v43
	s_xor_b32 s7, exec_lo, s7
; %bb.1131:                             ;   in Loop: Header=BB0_979 Depth=2
	s_delay_alu instid0(VALU_DEP_2) | instskip(SKIP_2) | instid1(VALU_DEP_2)
	v_cmp_lt_u64_e32 vcc_lo, 0xffffff, v[118:119]
	v_add_nc_u32_e32 v40, 15, v41
	v_cndmask_b32_e64 v41, 0, 1, vcc_lo
	v_cndmask_b32_e32 v40, v43, v40, vcc_lo
	s_delay_alu instid0(VALU_DEP_2)
	v_lshrrev_b64 v[118:119], v41, v[118:119]
; %bb.1132:                             ;   in Loop: Header=BB0_979 Depth=2
	s_and_not1_saveexec_b32 s7, s7
; %bb.1133:                             ;   in Loop: Header=BB0_979 Depth=2
	s_delay_alu instid0(VALU_DEP_1)
	v_bfe_u32 v40, v118, 23, 1
; %bb.1134:                             ;   in Loop: Header=BB0_979 Depth=2
	s_or_b32 exec_lo, exec_lo, s7
	s_delay_alu instid0(VALU_DEP_2) | instskip(NEXT) | instid1(VALU_DEP_2)
	v_lshrrev_b64 v[118:119], 21, v[118:119]
	v_cmp_gt_i32_e32 vcc_lo, 32, v40
	v_min_i32_e32 v41, 31, v40
	v_cmp_eq_u32_e64 s7, 0, v40
	s_delay_alu instid0(VALU_DEP_2) | instskip(SKIP_1) | instid1(VALU_DEP_2)
	v_dual_cndmask_b32 v119, 0, v119, vcc_lo :: v_dual_lshlrev_b32 v41, 2, v41
	v_cndmask_b32_e32 v118, 3, v118, vcc_lo
	v_and_b32_e32 v41, 0xfc, v41
	s_delay_alu instid0(VALU_DEP_2) | instskip(NEXT) | instid1(VALU_DEP_2)
	v_cmp_eq_u64_e32 vcc_lo, 0, v[118:119]
	v_and_or_b32 v118, v118, 3, v41
	s_and_b32 s7, s7, vcc_lo
	s_delay_alu instid0(VALU_DEP_1) | instid1(SALU_CYCLE_1)
	v_cndmask_b32_e64 v118, v118, 0, s7
	s_delay_alu instid0(VALU_DEP_1)
	v_or_b32_e32 v43, v118, v30
.LBB0_1135:                             ;   in Loop: Header=BB0_979 Depth=2
	s_or_b32 exec_lo, exec_lo, s21
                                        ; implicit-def: $vgpr30
.LBB0_1136:                             ;   in Loop: Header=BB0_979 Depth=2
	s_and_not1_saveexec_b32 s7, s20
; %bb.1137:                             ;   in Loop: Header=BB0_979 Depth=2
	v_or_b32_e32 v43, 0x7b, v30
; %bb.1138:                             ;   in Loop: Header=BB0_979 Depth=2
	s_or_b32 exec_lo, exec_lo, s7
                                        ; implicit-def: $vgpr40
                                        ; implicit-def: $vgpr118_vgpr119
                                        ; implicit-def: $vgpr30
.LBB0_1139:                             ;   in Loop: Header=BB0_979 Depth=2
	s_and_not1_saveexec_b32 s7, s19
	s_cbranch_execz .LBB0_1145
; %bb.1140:                             ;   in Loop: Header=BB0_979 Depth=2
	s_mov_b32 s19, exec_lo
                                        ; implicit-def: $vgpr43
	v_cmpx_ne_u64_e32 0, v[118:119]
	s_xor_b32 s19, exec_lo, s19
; %bb.1141:                             ;   in Loop: Header=BB0_979 Depth=2
	v_or_b32_e32 v43, 0x7f, v30
                                        ; implicit-def: $vgpr40
; %bb.1142:                             ;   in Loop: Header=BB0_979 Depth=2
	s_and_not1_saveexec_b32 s19, s19
; %bb.1143:                             ;   in Loop: Header=BB0_979 Depth=2
	v_cmp_lt_i32_e32 vcc_lo, -1, v40
	v_cndmask_b32_e32 v43, 0xfc, v59, vcc_lo
; %bb.1144:                             ;   in Loop: Header=BB0_979 Depth=2
	s_or_b32 exec_lo, exec_lo, s19
.LBB0_1145:                             ;   in Loop: Header=BB0_979 Depth=2
	s_delay_alu instid0(SALU_CYCLE_1) | instskip(SKIP_3) | instid1(VALU_DEP_2)
	s_or_b32 exec_lo, exec_lo, s7
	v_lshrrev_b16 v118, 8, v64
	v_mov_b32_e32 v119, 0
	s_mov_b32 s7, exec_lo
	v_cmpx_ne_u16_e32 0, v118
	s_cbranch_execz .LBB0_1155
; %bb.1146:                             ;   in Loop: Header=BB0_979 Depth=2
	v_bfrev_b32_e32 v119, 1
	s_mov_b32 s19, exec_lo
	v_cmpx_ne_u16_e32 0x80, v118
	s_cbranch_execz .LBB0_1154
; %bb.1147:                             ;   in Loop: Header=BB0_979 Depth=2
	v_and_b32_e32 v40, 0xffff, v118
	s_delay_alu instid0(VALU_DEP_1) | instskip(SKIP_1) | instid1(VALU_DEP_2)
	v_and_b32_e32 v119, 0x7c, v40
	v_and_b32_e32 v30, 3, v40
	v_cmp_ne_u32_e32 vcc_lo, 0x7c, v119
                                        ; implicit-def: $vgpr119
	s_and_saveexec_b32 s20, vcc_lo
	s_delay_alu instid0(SALU_CYCLE_1)
	s_xor_b32 s20, exec_lo, s20
	s_cbranch_execz .LBB0_1151
; %bb.1148:                             ;   in Loop: Header=BB0_979 Depth=2
	v_bfe_u32 v119, v40, 2, 5
	s_mov_b32 s21, exec_lo
	s_delay_alu instid0(VALU_DEP_1)
	v_cmpx_eq_u32_e32 0, v119
	s_cbranch_execz .LBB0_1150
; %bb.1149:                             ;   in Loop: Header=BB0_979 Depth=2
	v_clz_i32_u32_e32 v30, v30
	v_mov_b32_e32 v119, v65
	s_delay_alu instid0(VALU_DEP_2) | instskip(NEXT) | instid1(VALU_DEP_1)
	v_min_u32_e32 v30, 32, v30
	v_subrev_nc_u32_e32 v40, 29, v30
	s_delay_alu instid0(VALU_DEP_1) | instskip(SKIP_1) | instid1(VALU_DEP_2)
	v_lshlrev_b64_e32 v[118:119], v40, v[118:119]
	v_sub_nc_u32_e32 v119, 30, v30
	v_and_b32_e32 v30, 3, v118
.LBB0_1150:                             ;   in Loop: Header=BB0_979 Depth=2
	s_or_b32 exec_lo, exec_lo, s21
	v_lshlrev_b32_e32 v118, 16, v64
	s_delay_alu instid0(VALU_DEP_1) | instskip(NEXT) | instid1(VALU_DEP_1)
	v_and_b32_e32 v118, 0x80000000, v118
	v_lshl_add_u32 v118, v119, 23, v118
	s_delay_alu instid0(VALU_DEP_1) | instskip(NEXT) | instid1(VALU_DEP_1)
	v_lshl_or_b32 v30, v30, 21, v118
	v_add_nc_u32_e32 v119, 0x38000000, v30
                                        ; implicit-def: $vgpr30
.LBB0_1151:                             ;   in Loop: Header=BB0_979 Depth=2
	s_and_not1_saveexec_b32 s20, s20
; %bb.1152:                             ;   in Loop: Header=BB0_979 Depth=2
	v_cmp_lt_i16_e32 vcc_lo, -1, v64
	v_cndmask_b32_e32 v118, 0xff800000, v21, vcc_lo
	v_cmp_eq_u32_e32 vcc_lo, 0, v30
	s_delay_alu instid0(VALU_DEP_2)
	v_cndmask_b32_e32 v119, 0x7f800001, v118, vcc_lo
; %bb.1153:                             ;   in Loop: Header=BB0_979 Depth=2
	s_or_b32 exec_lo, exec_lo, s20
.LBB0_1154:                             ;   in Loop: Header=BB0_979 Depth=2
	s_delay_alu instid0(SALU_CYCLE_1)
	s_or_b32 exec_lo, exec_lo, s19
.LBB0_1155:                             ;   in Loop: Header=BB0_979 Depth=2
	s_delay_alu instid0(SALU_CYCLE_1) | instskip(NEXT) | instid1(VALU_DEP_1)
	s_or_b32 exec_lo, exec_lo, s7
	v_dual_mul_f32 v40, v56, v119 :: v_dual_mov_b32 v47, v65
	v_mov_b32_e32 v119, v65
                                        ; implicit-def: $vgpr45
	s_mov_b32 s7, exec_lo
	s_delay_alu instid0(VALU_DEP_2) | instskip(SKIP_2) | instid1(VALU_DEP_3)
	v_and_b32_e32 v46, 0x7f800000, v40
	v_and_b32_e32 v118, 0x7fffff, v40
	v_lshrrev_b32_e32 v30, 24, v40
	v_cmpx_ne_u64_e32 0x7f800000, v[46:47]
	s_xor_b32 s19, exec_lo, s7
	s_cbranch_execz .LBB0_1169
; %bb.1156:                             ;   in Loop: Header=BB0_979 Depth=2
	v_and_b32_e32 v46, 0x7fffffff, v40
	v_mov_b32_e32 v47, v65
	v_and_b32_e32 v30, 0x80, v30
                                        ; implicit-def: $vgpr45
	s_mov_b32 s7, exec_lo
	s_delay_alu instid0(VALU_DEP_2)
	v_cmpx_gt_u64_e32 0x47600001, v[46:47]
	s_xor_b32 s20, exec_lo, s7
	s_cbranch_execz .LBB0_1166
; %bb.1157:                             ;   in Loop: Header=BB0_979 Depth=2
	v_mov_b32_e32 v45, 0
	s_mov_b32 s21, exec_lo
	v_cmpx_ne_u32_e32 0, v40
	s_cbranch_execz .LBB0_1165
; %bb.1158:                             ;   in Loop: Header=BB0_979 Depth=2
	v_bfe_u32 v45, v40, 23, 8
	v_or_b32_e32 v47, 0x800000, v118
	s_delay_alu instid0(VALU_DEP_2) | instskip(SKIP_1) | instid1(VALU_DEP_2)
	v_sub_nc_u32_e32 v40, 0x71, v45
	v_cmp_gt_u32_e32 vcc_lo, 0x72, v45
	v_cndmask_b32_e32 v40, 0, v40, vcc_lo
	v_cmp_eq_u32_e32 vcc_lo, 0, v45
	s_delay_alu instid0(VALU_DEP_2) | instskip(SKIP_1) | instid1(VALU_DEP_2)
	v_cndmask_b32_e64 v46, v40, 0x70, vcc_lo
	v_cndmask_b32_e32 v118, v47, v118, vcc_lo
	v_dual_add_nc_u32 v40, 21, v46 :: v_dual_add_nc_u32 v72, 20, v46
	s_delay_alu instid0(VALU_DEP_1) | instskip(NEXT) | instid1(VALU_DEP_2)
	v_lshlrev_b64_e64 v[40:41], v40, -1
	v_lshlrev_b64_e64 v[72:73], v72, 1
	s_delay_alu instid0(VALU_DEP_2) | instskip(SKIP_1) | instid1(VALU_DEP_4)
	v_bfi_b32 v40, v40, 0, v118
	v_lshrrev_b64 v[118:119], v46, v[118:119]
	v_bfi_b32 v41, v41, 0, 0
	s_delay_alu instid0(VALU_DEP_1) | instskip(NEXT) | instid1(VALU_DEP_3)
	v_cmp_eq_u64_e64 s7, v[40:41], v[72:73]
	v_mov_b64_e32 v[40:41], v[118:119]
	s_and_saveexec_b32 s22, s7
; %bb.1159:                             ;   in Loop: Header=BB0_979 Depth=2
	v_bfe_u32 v40, v118, 21, 1
	v_mov_b32_e32 v41, v65
	s_delay_alu instid0(VALU_DEP_1) | instskip(NEXT) | instid1(VALU_DEP_1)
	v_add_nc_u64_e32 v[40:41], v[118:119], v[40:41]
	v_add_nc_u64_e32 v[40:41], -1, v[40:41]
; %bb.1160:                             ;   in Loop: Header=BB0_979 Depth=2
	s_or_b32 exec_lo, exec_lo, s22
	v_add_nc_u32_e32 v119, 0xffffff81, v45
	v_lshrrev_b32_e32 v41, 23, v118
	s_mov_b32 s7, exec_lo
	s_delay_alu instid0(VALU_DEP_2) | instskip(NEXT) | instid1(VALU_DEP_1)
	v_cndmask_b32_e64 v119, v119, 0xffffff82, vcc_lo
	v_add3_u32 v41, v46, v119, v41
	v_and_b32_e32 v119, 0x1fffff, v40
                                        ; implicit-def: $vgpr40
	s_delay_alu instid0(VALU_DEP_1) | instskip(SKIP_1) | instid1(VALU_DEP_2)
	v_dual_add_nc_u32 v45, 14, v41 :: v_dual_add_nc_u32 v118, v119, v118
	v_mov_b32_e32 v119, v65
	v_cmpx_ne_u32_e32 0, v45
	s_xor_b32 s7, exec_lo, s7
; %bb.1161:                             ;   in Loop: Header=BB0_979 Depth=2
	s_delay_alu instid0(VALU_DEP_2) | instskip(SKIP_2) | instid1(VALU_DEP_2)
	v_cmp_lt_u64_e32 vcc_lo, 0xffffff, v[118:119]
	v_add_nc_u32_e32 v40, 15, v41
	v_cndmask_b32_e64 v41, 0, 1, vcc_lo
	v_cndmask_b32_e32 v40, v45, v40, vcc_lo
	s_delay_alu instid0(VALU_DEP_2)
	v_lshrrev_b64 v[118:119], v41, v[118:119]
; %bb.1162:                             ;   in Loop: Header=BB0_979 Depth=2
	s_and_not1_saveexec_b32 s7, s7
; %bb.1163:                             ;   in Loop: Header=BB0_979 Depth=2
	s_delay_alu instid0(VALU_DEP_1)
	v_bfe_u32 v40, v118, 23, 1
; %bb.1164:                             ;   in Loop: Header=BB0_979 Depth=2
	s_or_b32 exec_lo, exec_lo, s7
	s_delay_alu instid0(VALU_DEP_2) | instskip(NEXT) | instid1(VALU_DEP_2)
	v_lshrrev_b64 v[118:119], 21, v[118:119]
	v_cmp_gt_i32_e32 vcc_lo, 32, v40
	v_min_i32_e32 v41, 31, v40
	v_cmp_eq_u32_e64 s7, 0, v40
	s_delay_alu instid0(VALU_DEP_2) | instskip(SKIP_1) | instid1(VALU_DEP_2)
	v_dual_cndmask_b32 v119, 0, v119, vcc_lo :: v_dual_lshlrev_b32 v41, 2, v41
	v_cndmask_b32_e32 v118, 3, v118, vcc_lo
	v_and_b32_e32 v41, 0xfc, v41
	s_delay_alu instid0(VALU_DEP_2) | instskip(NEXT) | instid1(VALU_DEP_2)
	v_cmp_eq_u64_e32 vcc_lo, 0, v[118:119]
	v_and_or_b32 v118, v118, 3, v41
	s_and_b32 s7, s7, vcc_lo
	s_delay_alu instid0(VALU_DEP_1) | instid1(SALU_CYCLE_1)
	v_cndmask_b32_e64 v118, v118, 0, s7
	s_delay_alu instid0(VALU_DEP_1)
	v_or_b32_e32 v45, v118, v30
.LBB0_1165:                             ;   in Loop: Header=BB0_979 Depth=2
	s_or_b32 exec_lo, exec_lo, s21
                                        ; implicit-def: $vgpr30
.LBB0_1166:                             ;   in Loop: Header=BB0_979 Depth=2
	s_and_not1_saveexec_b32 s7, s20
; %bb.1167:                             ;   in Loop: Header=BB0_979 Depth=2
	v_or_b32_e32 v45, 0x7b, v30
; %bb.1168:                             ;   in Loop: Header=BB0_979 Depth=2
	s_or_b32 exec_lo, exec_lo, s7
                                        ; implicit-def: $vgpr40
                                        ; implicit-def: $vgpr118_vgpr119
                                        ; implicit-def: $vgpr30
.LBB0_1169:                             ;   in Loop: Header=BB0_979 Depth=2
	s_and_not1_saveexec_b32 s7, s19
	s_cbranch_execz .LBB0_1175
; %bb.1170:                             ;   in Loop: Header=BB0_979 Depth=2
	s_mov_b32 s19, exec_lo
                                        ; implicit-def: $vgpr45
	v_cmpx_ne_u64_e32 0, v[118:119]
	s_xor_b32 s19, exec_lo, s19
; %bb.1171:                             ;   in Loop: Header=BB0_979 Depth=2
	v_or_b32_e32 v45, 0x7f, v30
                                        ; implicit-def: $vgpr40
; %bb.1172:                             ;   in Loop: Header=BB0_979 Depth=2
	s_and_not1_saveexec_b32 s19, s19
; %bb.1173:                             ;   in Loop: Header=BB0_979 Depth=2
	v_cmp_lt_i32_e32 vcc_lo, -1, v40
	v_cndmask_b32_e32 v45, 0xfc, v59, vcc_lo
; %bb.1174:                             ;   in Loop: Header=BB0_979 Depth=2
	s_or_b32 exec_lo, exec_lo, s19
.LBB0_1175:                             ;   in Loop: Header=BB0_979 Depth=2
	s_delay_alu instid0(SALU_CYCLE_1) | instskip(SKIP_2) | instid1(VALU_DEP_1)
	s_or_b32 exec_lo, exec_lo, s7
	v_dual_lshrrev_b32 v30, 16, v64 :: v_dual_mov_b32 v118, 0
	s_mov_b32 s7, exec_lo
	v_and_b32_e32 v119, 0xff, v30
	s_delay_alu instid0(VALU_DEP_1)
	v_cmpx_ne_u16_e32 0, v119
	s_cbranch_execz .LBB0_1185
; %bb.1176:                             ;   in Loop: Header=BB0_979 Depth=2
	v_bfrev_b32_e32 v118, 1
	s_mov_b32 s19, exec_lo
	v_cmpx_ne_u16_e32 0x80, v119
	s_cbranch_execz .LBB0_1184
; %bb.1177:                             ;   in Loop: Header=BB0_979 Depth=2
	v_and_b32_e32 v118, 0x7c0000, v64
	v_bfe_u32 v119, v64, 16, 2
	s_delay_alu instid0(VALU_DEP_2) | instskip(SKIP_1) | instid1(SALU_CYCLE_1)
	v_cmp_ne_u32_e32 vcc_lo, 0x7c0000, v118
                                        ; implicit-def: $vgpr118
	s_and_saveexec_b32 s20, vcc_lo
	s_xor_b32 s20, exec_lo, s20
	s_cbranch_execz .LBB0_1181
; %bb.1178:                             ;   in Loop: Header=BB0_979 Depth=2
	v_bfe_u32 v118, v64, 18, 5
	s_mov_b32 s21, exec_lo
	s_delay_alu instid0(VALU_DEP_1)
	v_cmpx_eq_u32_e32 0, v118
; %bb.1179:                             ;   in Loop: Header=BB0_979 Depth=2
	v_clz_i32_u32_e32 v118, v119
	s_delay_alu instid0(VALU_DEP_1) | instskip(NEXT) | instid1(VALU_DEP_1)
	v_min_u32_e32 v118, 32, v118
	v_subrev_nc_u32_e32 v119, 29, v118
	s_delay_alu instid0(VALU_DEP_1) | instskip(NEXT) | instid1(VALU_DEP_1)
	v_lshlrev_b64_e32 v[40:41], v119, v[30:31]
	v_dual_sub_nc_u32 v118, 30, v118 :: v_dual_bitop2_b32 v119, 3, v40 bitop3:0x40
; %bb.1180:                             ;   in Loop: Header=BB0_979 Depth=2
	s_or_b32 exec_lo, exec_lo, s21
	v_lshlrev_b32_e32 v30, 24, v30
	s_delay_alu instid0(VALU_DEP_1) | instskip(NEXT) | instid1(VALU_DEP_1)
	v_and_b32_e32 v30, 0x80000000, v30
	v_lshl_add_u32 v30, v118, 23, v30
	s_delay_alu instid0(VALU_DEP_1) | instskip(NEXT) | instid1(VALU_DEP_1)
	v_lshl_or_b32 v30, v119, 21, v30
                                        ; implicit-def: $vgpr119
	v_add_nc_u32_e32 v118, 0x38000000, v30
                                        ; implicit-def: $vgpr30
.LBB0_1181:                             ;   in Loop: Header=BB0_979 Depth=2
	s_and_not1_saveexec_b32 s20, s20
; %bb.1182:                             ;   in Loop: Header=BB0_979 Depth=2
	v_bfe_i32 v30, v30, 0, 8
	s_delay_alu instid0(VALU_DEP_1) | instskip(SKIP_2) | instid1(VALU_DEP_2)
	v_cmp_lt_i16_e32 vcc_lo, -1, v30
	v_cndmask_b32_e32 v30, 0xff800000, v21, vcc_lo
	v_cmp_eq_u32_e32 vcc_lo, 0, v119
	v_cndmask_b32_e32 v118, 0x7f800001, v30, vcc_lo
; %bb.1183:                             ;   in Loop: Header=BB0_979 Depth=2
	s_or_b32 exec_lo, exec_lo, s20
.LBB0_1184:                             ;   in Loop: Header=BB0_979 Depth=2
	s_delay_alu instid0(SALU_CYCLE_1)
	s_or_b32 exec_lo, exec_lo, s19
.LBB0_1185:                             ;   in Loop: Header=BB0_979 Depth=2
	s_delay_alu instid0(SALU_CYCLE_1) | instskip(NEXT) | instid1(VALU_DEP_1)
	s_or_b32 exec_lo, exec_lo, s7
	v_dual_mul_f32 v40, v56, v118 :: v_dual_mov_b32 v47, v65
	s_delay_alu instid0(VALU_DEP_1) | instskip(SKIP_2) | instid1(VALU_DEP_2)
	v_dual_mov_b32 v119, v65 :: v_dual_lshrrev_b32 v30, 24, v40
	v_and_b32_e32 v46, 0x7f800000, v40
	v_and_b32_e32 v118, 0x7fffff, v40
	v_cmp_ne_u64_e32 vcc_lo, 0x7f800000, v[46:47]
                                        ; implicit-def: $vgpr46
	s_and_saveexec_b32 s7, vcc_lo
	s_delay_alu instid0(SALU_CYCLE_1)
	s_xor_b32 s19, exec_lo, s7
	s_cbranch_execz .LBB0_1199
; %bb.1186:                             ;   in Loop: Header=BB0_979 Depth=2
	v_and_b32_e32 v46, 0x7fffffff, v40
	v_mov_b32_e32 v47, v65
	v_and_b32_e32 v30, 0x80, v30
	s_delay_alu instid0(VALU_DEP_2) | instskip(SKIP_1) | instid1(SALU_CYCLE_1)
	v_cmp_gt_u64_e32 vcc_lo, 0x47600001, v[46:47]
                                        ; implicit-def: $vgpr46
	s_and_saveexec_b32 s7, vcc_lo
	s_xor_b32 s20, exec_lo, s7
	s_cbranch_execz .LBB0_1196
; %bb.1187:                             ;   in Loop: Header=BB0_979 Depth=2
	v_mov_b32_e32 v46, 0
	s_mov_b32 s21, exec_lo
	v_cmpx_ne_u32_e32 0, v40
	s_cbranch_execz .LBB0_1195
; %bb.1188:                             ;   in Loop: Header=BB0_979 Depth=2
	v_bfe_u32 v46, v40, 23, 8
	v_or_b32_e32 v72, 0x800000, v118
	s_delay_alu instid0(VALU_DEP_2) | instskip(SKIP_1) | instid1(VALU_DEP_2)
	v_sub_nc_u32_e32 v40, 0x71, v46
	v_cmp_gt_u32_e32 vcc_lo, 0x72, v46
	v_cndmask_b32_e32 v40, 0, v40, vcc_lo
	v_cmp_eq_u32_e32 vcc_lo, 0, v46
	s_delay_alu instid0(VALU_DEP_2) | instskip(NEXT) | instid1(VALU_DEP_1)
	v_cndmask_b32_e64 v47, v40, 0x70, vcc_lo
	v_dual_cndmask_b32 v118, v72, v118, vcc_lo :: v_dual_add_nc_u32 v40, 21, v47
	v_add_nc_u32_e32 v73, 20, v47
	s_delay_alu instid0(VALU_DEP_2) | instskip(NEXT) | instid1(VALU_DEP_2)
	v_lshlrev_b64_e64 v[40:41], v40, -1
	v_lshlrev_b64_e64 v[72:73], v73, 1
	s_delay_alu instid0(VALU_DEP_2) | instskip(SKIP_1) | instid1(VALU_DEP_4)
	v_bfi_b32 v40, v40, 0, v118
	v_lshrrev_b64 v[118:119], v47, v[118:119]
	v_bfi_b32 v41, v41, 0, 0
	s_delay_alu instid0(VALU_DEP_1) | instskip(NEXT) | instid1(VALU_DEP_3)
	v_cmp_eq_u64_e64 s7, v[40:41], v[72:73]
	v_mov_b64_e32 v[40:41], v[118:119]
	s_and_saveexec_b32 s22, s7
; %bb.1189:                             ;   in Loop: Header=BB0_979 Depth=2
	v_bfe_u32 v40, v118, 21, 1
	v_mov_b32_e32 v41, v65
	s_delay_alu instid0(VALU_DEP_1) | instskip(NEXT) | instid1(VALU_DEP_1)
	v_add_nc_u64_e32 v[40:41], v[118:119], v[40:41]
	v_add_nc_u64_e32 v[40:41], -1, v[40:41]
; %bb.1190:                             ;   in Loop: Header=BB0_979 Depth=2
	s_or_b32 exec_lo, exec_lo, s22
	v_add_nc_u32_e32 v119, 0xffffff81, v46
	v_lshrrev_b32_e32 v41, 23, v118
	s_mov_b32 s7, exec_lo
	s_delay_alu instid0(VALU_DEP_2) | instskip(NEXT) | instid1(VALU_DEP_1)
	v_cndmask_b32_e64 v119, v119, 0xffffff82, vcc_lo
	v_add3_u32 v41, v47, v119, v41
	v_and_b32_e32 v119, 0x1fffff, v40
                                        ; implicit-def: $vgpr40
	s_delay_alu instid0(VALU_DEP_1) | instskip(SKIP_1) | instid1(VALU_DEP_2)
	v_dual_add_nc_u32 v46, 14, v41 :: v_dual_add_nc_u32 v118, v119, v118
	v_mov_b32_e32 v119, v65
	v_cmpx_ne_u32_e32 0, v46
	s_xor_b32 s7, exec_lo, s7
; %bb.1191:                             ;   in Loop: Header=BB0_979 Depth=2
	s_delay_alu instid0(VALU_DEP_2) | instskip(SKIP_2) | instid1(VALU_DEP_2)
	v_cmp_lt_u64_e32 vcc_lo, 0xffffff, v[118:119]
	v_add_nc_u32_e32 v40, 15, v41
	v_cndmask_b32_e64 v41, 0, 1, vcc_lo
	v_cndmask_b32_e32 v40, v46, v40, vcc_lo
	s_delay_alu instid0(VALU_DEP_2)
	v_lshrrev_b64 v[118:119], v41, v[118:119]
; %bb.1192:                             ;   in Loop: Header=BB0_979 Depth=2
	s_and_not1_saveexec_b32 s7, s7
; %bb.1193:                             ;   in Loop: Header=BB0_979 Depth=2
	s_delay_alu instid0(VALU_DEP_1)
	v_bfe_u32 v40, v118, 23, 1
; %bb.1194:                             ;   in Loop: Header=BB0_979 Depth=2
	s_or_b32 exec_lo, exec_lo, s7
	s_delay_alu instid0(VALU_DEP_2) | instskip(NEXT) | instid1(VALU_DEP_2)
	v_lshrrev_b64 v[118:119], 21, v[118:119]
	v_cmp_gt_i32_e32 vcc_lo, 32, v40
	v_min_i32_e32 v41, 31, v40
	v_cmp_eq_u32_e64 s7, 0, v40
	s_delay_alu instid0(VALU_DEP_2) | instskip(SKIP_1) | instid1(VALU_DEP_2)
	v_dual_cndmask_b32 v119, 0, v119, vcc_lo :: v_dual_lshlrev_b32 v41, 2, v41
	v_cndmask_b32_e32 v118, 3, v118, vcc_lo
	v_and_b32_e32 v41, 0xfc, v41
	s_delay_alu instid0(VALU_DEP_2) | instskip(NEXT) | instid1(VALU_DEP_2)
	v_cmp_eq_u64_e32 vcc_lo, 0, v[118:119]
	v_and_or_b32 v118, v118, 3, v41
	s_and_b32 s7, s7, vcc_lo
	s_delay_alu instid0(VALU_DEP_1) | instid1(SALU_CYCLE_1)
	v_cndmask_b32_e64 v118, v118, 0, s7
	s_delay_alu instid0(VALU_DEP_1)
	v_or_b32_e32 v46, v118, v30
.LBB0_1195:                             ;   in Loop: Header=BB0_979 Depth=2
	s_or_b32 exec_lo, exec_lo, s21
                                        ; implicit-def: $vgpr30
.LBB0_1196:                             ;   in Loop: Header=BB0_979 Depth=2
	s_and_not1_saveexec_b32 s7, s20
; %bb.1197:                             ;   in Loop: Header=BB0_979 Depth=2
	v_or_b32_e32 v46, 0x7b, v30
; %bb.1198:                             ;   in Loop: Header=BB0_979 Depth=2
	s_or_b32 exec_lo, exec_lo, s7
                                        ; implicit-def: $vgpr40
                                        ; implicit-def: $vgpr118_vgpr119
                                        ; implicit-def: $vgpr30
.LBB0_1199:                             ;   in Loop: Header=BB0_979 Depth=2
	s_and_not1_saveexec_b32 s7, s19
	s_cbranch_execz .LBB0_1205
; %bb.1200:                             ;   in Loop: Header=BB0_979 Depth=2
	s_mov_b32 s19, exec_lo
                                        ; implicit-def: $vgpr46
	v_cmpx_ne_u64_e32 0, v[118:119]
	s_xor_b32 s19, exec_lo, s19
; %bb.1201:                             ;   in Loop: Header=BB0_979 Depth=2
	v_or_b32_e32 v46, 0x7f, v30
                                        ; implicit-def: $vgpr40
; %bb.1202:                             ;   in Loop: Header=BB0_979 Depth=2
	s_and_not1_saveexec_b32 s19, s19
; %bb.1203:                             ;   in Loop: Header=BB0_979 Depth=2
	v_cmp_lt_i32_e32 vcc_lo, -1, v40
	v_cndmask_b32_e32 v46, 0xfc, v59, vcc_lo
; %bb.1204:                             ;   in Loop: Header=BB0_979 Depth=2
	s_or_b32 exec_lo, exec_lo, s19
.LBB0_1205:                             ;   in Loop: Header=BB0_979 Depth=2
	s_delay_alu instid0(SALU_CYCLE_1)
	s_or_b32 exec_lo, exec_lo, s7
	v_mov_b32_e32 v118, 0
	s_mov_b32 s7, exec_lo
	v_cmpx_lt_u32_e32 0xffffff, v64
	s_cbranch_execz .LBB0_1215
; %bb.1206:                             ;   in Loop: Header=BB0_979 Depth=2
	v_lshrrev_b32_e32 v30, 24, v64
	v_bfrev_b32_e32 v118, 1
	s_mov_b32 s19, exec_lo
	s_delay_alu instid0(VALU_DEP_2)
	v_cmpx_ne_u32_e32 0x80, v30
	s_cbranch_execz .LBB0_1214
; %bb.1207:                             ;   in Loop: Header=BB0_979 Depth=2
	v_and_b32_e32 v118, 0x7c000000, v64
	v_bfe_u32 v119, v64, 24, 2
	s_delay_alu instid0(VALU_DEP_2) | instskip(SKIP_1) | instid1(SALU_CYCLE_1)
	v_cmp_ne_u32_e32 vcc_lo, 0x7c000000, v118
                                        ; implicit-def: $vgpr118
	s_and_saveexec_b32 s20, vcc_lo
	s_xor_b32 s20, exec_lo, s20
	s_cbranch_execz .LBB0_1211
; %bb.1208:                             ;   in Loop: Header=BB0_979 Depth=2
	v_bfe_u32 v118, v64, 26, 5
	s_mov_b32 s21, exec_lo
	s_delay_alu instid0(VALU_DEP_1)
	v_cmpx_eq_u32_e32 0, v118
; %bb.1209:                             ;   in Loop: Header=BB0_979 Depth=2
	v_clz_i32_u32_e32 v118, v119
	s_delay_alu instid0(VALU_DEP_1) | instskip(NEXT) | instid1(VALU_DEP_1)
	v_min_u32_e32 v118, 32, v118
	v_subrev_nc_u32_e32 v119, 29, v118
	s_delay_alu instid0(VALU_DEP_1) | instskip(NEXT) | instid1(VALU_DEP_1)
	v_lshlrev_b64_e32 v[40:41], v119, v[30:31]
	v_dual_sub_nc_u32 v118, 30, v118 :: v_dual_bitop2_b32 v119, 3, v40 bitop3:0x40
; %bb.1210:                             ;   in Loop: Header=BB0_979 Depth=2
	s_or_b32 exec_lo, exec_lo, s21
	v_and_b32_e32 v30, 0x80000000, v64
	s_delay_alu instid0(VALU_DEP_1) | instskip(NEXT) | instid1(VALU_DEP_1)
	v_lshl_add_u32 v30, v118, 23, v30
	v_lshl_or_b32 v30, v119, 21, v30
                                        ; implicit-def: $vgpr119
	s_delay_alu instid0(VALU_DEP_1)
	v_add_nc_u32_e32 v118, 0x38000000, v30
.LBB0_1211:                             ;   in Loop: Header=BB0_979 Depth=2
	s_and_not1_saveexec_b32 s20, s20
; %bb.1212:                             ;   in Loop: Header=BB0_979 Depth=2
	v_cmp_lt_i32_e32 vcc_lo, -1, v64
	v_cndmask_b32_e32 v30, 0xff800000, v21, vcc_lo
	v_cmp_eq_u32_e32 vcc_lo, 0, v119
	s_delay_alu instid0(VALU_DEP_2)
	v_cndmask_b32_e32 v118, 0x7f800001, v30, vcc_lo
; %bb.1213:                             ;   in Loop: Header=BB0_979 Depth=2
	s_or_b32 exec_lo, exec_lo, s20
.LBB0_1214:                             ;   in Loop: Header=BB0_979 Depth=2
	s_delay_alu instid0(SALU_CYCLE_1)
	s_or_b32 exec_lo, exec_lo, s19
.LBB0_1215:                             ;   in Loop: Header=BB0_979 Depth=2
	s_delay_alu instid0(SALU_CYCLE_1) | instskip(NEXT) | instid1(VALU_DEP_1)
	s_or_b32 exec_lo, exec_lo, s7
	v_dual_mul_f32 v118, v56, v118 :: v_dual_mov_b32 v41, v65
                                        ; implicit-def: $vgpr47
	s_mov_b32 s7, exec_lo
	s_delay_alu instid0(VALU_DEP_1) | instskip(SKIP_2) | instid1(VALU_DEP_3)
	v_and_b32_e32 v40, 0x7f800000, v118
	v_and_b32_e32 v64, 0x7fffff, v118
	v_lshrrev_b32_e32 v30, 24, v118
	v_cmpx_ne_u64_e32 0x7f800000, v[40:41]
	s_xor_b32 s19, exec_lo, s7
	s_cbranch_execz .LBB0_1229
; %bb.1216:                             ;   in Loop: Header=BB0_979 Depth=2
	v_and_b32_e32 v40, 0x7fffffff, v118
	v_mov_b32_e32 v41, v65
	v_and_b32_e32 v30, 0x80, v30
                                        ; implicit-def: $vgpr47
	s_mov_b32 s7, exec_lo
	s_delay_alu instid0(VALU_DEP_2)
	v_cmpx_gt_u64_e32 0x47600001, v[40:41]
	s_xor_b32 s20, exec_lo, s7
	s_cbranch_execz .LBB0_1226
; %bb.1217:                             ;   in Loop: Header=BB0_979 Depth=2
	v_mov_b32_e32 v47, 0
	s_mov_b32 s21, exec_lo
	v_cmpx_ne_u32_e32 0, v118
	s_cbranch_execz .LBB0_1225
; %bb.1218:                             ;   in Loop: Header=BB0_979 Depth=2
	v_bfe_u32 v47, v118, 23, 8
	v_or_b32_e32 v40, 0x800000, v64
	s_delay_alu instid0(VALU_DEP_2) | instskip(SKIP_1) | instid1(VALU_DEP_2)
	v_sub_nc_u32_e32 v118, 0x71, v47
	v_cmp_gt_u32_e32 vcc_lo, 0x72, v47
	v_cndmask_b32_e32 v118, 0, v118, vcc_lo
	v_cmp_eq_u32_e32 vcc_lo, 0, v47
	s_delay_alu instid0(VALU_DEP_2) | instskip(SKIP_1) | instid1(VALU_DEP_2)
	v_cndmask_b32_e64 v72, v118, 0x70, vcc_lo
	v_cndmask_b32_e32 v64, v40, v64, vcc_lo
	v_dual_add_nc_u32 v118, 21, v72 :: v_dual_add_nc_u32 v41, 20, v72
	s_delay_alu instid0(VALU_DEP_1) | instskip(NEXT) | instid1(VALU_DEP_2)
	v_lshlrev_b64_e64 v[118:119], v118, -1
	v_lshlrev_b64_e64 v[40:41], v41, 1
	s_delay_alu instid0(VALU_DEP_2) | instskip(NEXT) | instid1(VALU_DEP_3)
	v_bfi_b32 v75, v119, 0, 0
	v_bfi_b32 v74, v118, 0, v64
	v_lshrrev_b64 v[118:119], v72, v[64:65]
	s_delay_alu instid0(VALU_DEP_2) | instskip(NEXT) | instid1(VALU_DEP_2)
	v_cmp_eq_u64_e64 s7, v[74:75], v[40:41]
	v_mov_b64_e32 v[40:41], v[118:119]
	s_and_saveexec_b32 s22, s7
; %bb.1219:                             ;   in Loop: Header=BB0_979 Depth=2
	v_bfe_u32 v64, v118, 21, 1
	s_delay_alu instid0(VALU_DEP_1) | instskip(NEXT) | instid1(VALU_DEP_1)
	v_add_nc_u64_e32 v[40:41], v[118:119], v[64:65]
	v_add_nc_u64_e32 v[40:41], -1, v[40:41]
; %bb.1220:                             ;   in Loop: Header=BB0_979 Depth=2
	s_or_b32 exec_lo, exec_lo, s22
	v_add_nc_u32_e32 v64, 0xffffff81, v47
	v_lshrrev_b32_e32 v119, 23, v118
	s_mov_b32 s7, exec_lo
	s_delay_alu instid0(VALU_DEP_2) | instskip(NEXT) | instid1(VALU_DEP_1)
	v_cndmask_b32_e64 v64, v64, 0xffffff82, vcc_lo
	v_add3_u32 v41, v72, v64, v119
	v_and_b32_e32 v64, 0x1fffff, v40
                                        ; implicit-def: $vgpr40
	s_delay_alu instid0(VALU_DEP_1) | instskip(NEXT) | instid1(VALU_DEP_1)
	v_dual_add_nc_u32 v47, 14, v41 :: v_dual_add_nc_u32 v64, v64, v118
                                        ; implicit-def: $vgpr118_vgpr119
	v_cmpx_ne_u32_e32 0, v47
	s_xor_b32 s7, exec_lo, s7
; %bb.1221:                             ;   in Loop: Header=BB0_979 Depth=2
	s_delay_alu instid0(VALU_DEP_2) | instskip(SKIP_1) | instid1(VALU_DEP_1)
	v_cmp_lt_u64_e32 vcc_lo, 0xffffff, v[64:65]
	v_add_nc_u32_e32 v118, 15, v41
	v_cndmask_b32_e32 v40, v47, v118, vcc_lo
	v_cndmask_b32_e64 v118, 0, 1, vcc_lo
	s_delay_alu instid0(VALU_DEP_1)
	v_lshrrev_b64 v[118:119], v118, v[64:65]
; %bb.1222:                             ;   in Loop: Header=BB0_979 Depth=2
	s_and_not1_saveexec_b32 s7, s7
; %bb.1223:                             ;   in Loop: Header=BB0_979 Depth=2
	v_mov_b64_e32 v[118:119], v[64:65]
	v_bfe_u32 v40, v64, 23, 1
; %bb.1224:                             ;   in Loop: Header=BB0_979 Depth=2
	s_or_b32 exec_lo, exec_lo, s7
	s_delay_alu instid0(VALU_DEP_2) | instskip(NEXT) | instid1(VALU_DEP_2)
	v_lshrrev_b64 v[118:119], 21, v[118:119]
	v_cmp_gt_i32_e32 vcc_lo, 32, v40
	v_min_i32_e32 v64, 31, v40
	v_cmp_eq_u32_e64 s7, 0, v40
	s_delay_alu instid0(VALU_DEP_2) | instskip(SKIP_1) | instid1(VALU_DEP_2)
	v_dual_cndmask_b32 v119, 0, v119 :: v_dual_lshlrev_b32 v64, 2, v64
	v_cndmask_b32_e32 v118, 3, v118, vcc_lo
	v_and_b32_e32 v64, 0xfc, v64
	s_delay_alu instid0(VALU_DEP_2) | instskip(NEXT) | instid1(VALU_DEP_2)
	v_cmp_eq_u64_e32 vcc_lo, 0, v[118:119]
	v_and_or_b32 v64, v118, 3, v64
	s_and_b32 s7, s7, vcc_lo
	s_delay_alu instid0(VALU_DEP_1) | instid1(SALU_CYCLE_1)
	v_cndmask_b32_e64 v64, v64, 0, s7
	s_delay_alu instid0(VALU_DEP_1)
	v_or_b32_e32 v47, v64, v30
.LBB0_1225:                             ;   in Loop: Header=BB0_979 Depth=2
	s_or_b32 exec_lo, exec_lo, s21
                                        ; implicit-def: $vgpr30
.LBB0_1226:                             ;   in Loop: Header=BB0_979 Depth=2
	s_and_not1_saveexec_b32 s7, s20
; %bb.1227:                             ;   in Loop: Header=BB0_979 Depth=2
	v_or_b32_e32 v47, 0x7b, v30
; %bb.1228:                             ;   in Loop: Header=BB0_979 Depth=2
	s_or_b32 exec_lo, exec_lo, s7
                                        ; implicit-def: $vgpr118
                                        ; implicit-def: $vgpr30
.LBB0_1229:                             ;   in Loop: Header=BB0_979 Depth=2
	s_and_not1_saveexec_b32 s7, s19
	s_cbranch_execz .LBB0_1235
; %bb.1230:                             ;   in Loop: Header=BB0_979 Depth=2
	s_mov_b32 s19, exec_lo
                                        ; implicit-def: $vgpr47
	v_cmpx_ne_u64_e32 0, v[64:65]
	s_xor_b32 s19, exec_lo, s19
; %bb.1231:                             ;   in Loop: Header=BB0_979 Depth=2
	v_or_b32_e32 v47, 0x7f, v30
                                        ; implicit-def: $vgpr118
; %bb.1232:                             ;   in Loop: Header=BB0_979 Depth=2
	s_and_not1_saveexec_b32 s19, s19
; %bb.1233:                             ;   in Loop: Header=BB0_979 Depth=2
	v_cmp_lt_i32_e32 vcc_lo, -1, v118
	v_cndmask_b32_e32 v47, 0xfc, v59, vcc_lo
; %bb.1234:                             ;   in Loop: Header=BB0_979 Depth=2
	s_or_b32 exec_lo, exec_lo, s19
.LBB0_1235:                             ;   in Loop: Header=BB0_979 Depth=2
	s_delay_alu instid0(SALU_CYCLE_1) | instskip(SKIP_4) | instid1(VALU_DEP_2)
	s_or_b32 exec_lo, exec_lo, s7
	s_wait_loadcnt 0x0
	v_and_b32_e32 v64, 0xff, v2
	v_dual_mov_b32 v30, 0 :: v_dual_mov_b32 v118, 0
	s_mov_b32 s7, exec_lo
	v_cmpx_ne_u16_e32 0, v64
	s_cbranch_execz .LBB0_1245
; %bb.1236:                             ;   in Loop: Header=BB0_979 Depth=2
	v_bfe_i32 v119, v2, 0, 8
	v_bfrev_b32_e32 v118, 1
	s_mov_b32 s19, exec_lo
	s_delay_alu instid0(VALU_DEP_2)
	v_cmpx_ne_u16_e32 0xff80, v119
	s_cbranch_execz .LBB0_1244
; %bb.1237:                             ;   in Loop: Header=BB0_979 Depth=2
	v_and_b32_e32 v118, 0x7c, v2
	v_and_b32_e32 v64, 3, v2
	s_delay_alu instid0(VALU_DEP_2) | instskip(SKIP_1) | instid1(SALU_CYCLE_1)
	v_cmp_ne_u32_e32 vcc_lo, 0x7c, v118
                                        ; implicit-def: $vgpr118
	s_and_saveexec_b32 s20, vcc_lo
	s_xor_b32 s20, exec_lo, s20
	s_cbranch_execz .LBB0_1241
; %bb.1238:                             ;   in Loop: Header=BB0_979 Depth=2
	v_bfe_u32 v118, v2, 2, 5
	s_mov_b32 s21, exec_lo
	s_delay_alu instid0(VALU_DEP_1)
	v_cmpx_eq_u32_e32 0, v118
; %bb.1239:                             ;   in Loop: Header=BB0_979 Depth=2
	v_clz_i32_u32_e32 v64, v64
	s_delay_alu instid0(VALU_DEP_1) | instskip(NEXT) | instid1(VALU_DEP_1)
	v_min_u32_e32 v64, 32, v64
	v_subrev_nc_u32_e32 v118, 29, v64
	s_delay_alu instid0(VALU_DEP_1) | instskip(SKIP_1) | instid1(VALU_DEP_2)
	v_lshlrev_b64_e32 v[40:41], v118, v[2:3]
	v_sub_nc_u32_e32 v118, 30, v64
	v_and_b32_e32 v64, 3, v40
; %bb.1240:                             ;   in Loop: Header=BB0_979 Depth=2
	s_or_b32 exec_lo, exec_lo, s21
	v_lshlrev_b32_e32 v3, 24, v2
                                        ; implicit-def: $vgpr119
	s_delay_alu instid0(VALU_DEP_1) | instskip(NEXT) | instid1(VALU_DEP_1)
	v_and_b32_e32 v3, 0x80000000, v3
	v_lshl_add_u32 v3, v118, 23, v3
	s_delay_alu instid0(VALU_DEP_1) | instskip(NEXT) | instid1(VALU_DEP_1)
	v_lshl_or_b32 v3, v64, 21, v3
                                        ; implicit-def: $vgpr64
	v_add_nc_u32_e32 v118, 0x38000000, v3
.LBB0_1241:                             ;   in Loop: Header=BB0_979 Depth=2
	s_and_not1_saveexec_b32 s20, s20
; %bb.1242:                             ;   in Loop: Header=BB0_979 Depth=2
	v_cmp_lt_i16_e32 vcc_lo, -1, v119
	v_cndmask_b32_e32 v3, 0xff800000, v21, vcc_lo
	v_cmp_eq_u32_e32 vcc_lo, 0, v64
	s_delay_alu instid0(VALU_DEP_2)
	v_cndmask_b32_e32 v118, 0x7f800001, v3, vcc_lo
; %bb.1243:                             ;   in Loop: Header=BB0_979 Depth=2
	s_or_b32 exec_lo, exec_lo, s20
.LBB0_1244:                             ;   in Loop: Header=BB0_979 Depth=2
	s_delay_alu instid0(SALU_CYCLE_1)
	s_or_b32 exec_lo, exec_lo, s19
.LBB0_1245:                             ;   in Loop: Header=BB0_979 Depth=2
	s_delay_alu instid0(SALU_CYCLE_1) | instskip(SKIP_3) | instid1(VALU_DEP_1)
	s_or_b32 exec_lo, exec_lo, s7
	v_lshl_or_b32 v3, v44, 8, v117
	v_dual_lshlrev_b32 v64, 16, v62 :: v_dual_lshlrev_b32 v119, 24, v63
	s_mov_b32 s7, exec_lo
	v_or3_b32 v64, v64, v119, v3
	v_cmpx_ne_u32_e32 0, v117
	s_cbranch_execz .LBB0_1255
; %bb.1246:                             ;   in Loop: Header=BB0_979 Depth=2
	v_bfrev_b32_e32 v30, 1
	s_mov_b32 s19, exec_lo
	v_cmpx_ne_u32_e32 0x80, v117
	s_cbranch_execz .LBB0_1254
; %bb.1247:                             ;   in Loop: Header=BB0_979 Depth=2
	v_and_b32_e32 v30, 0x7c, v117
	v_and_b32_e32 v119, 3, v117
	s_delay_alu instid0(VALU_DEP_2) | instskip(SKIP_1) | instid1(SALU_CYCLE_1)
	v_cmp_ne_u32_e32 vcc_lo, 0x7c, v30
                                        ; implicit-def: $vgpr30
	s_and_saveexec_b32 s20, vcc_lo
	s_xor_b32 s20, exec_lo, s20
	s_cbranch_execz .LBB0_1251
; %bb.1248:                             ;   in Loop: Header=BB0_979 Depth=2
	v_bfe_u32 v30, v117, 2, 5
	s_mov_b32 s21, exec_lo
	s_delay_alu instid0(VALU_DEP_1)
	v_cmpx_eq_u32_e32 0, v30
; %bb.1249:                             ;   in Loop: Header=BB0_979 Depth=2
	v_clz_i32_u32_e32 v30, v119
	s_delay_alu instid0(VALU_DEP_1) | instskip(NEXT) | instid1(VALU_DEP_1)
	v_min_u32_e32 v30, 32, v30
	v_subrev_nc_u32_e32 v119, 29, v30
	s_delay_alu instid0(VALU_DEP_1) | instskip(NEXT) | instid1(VALU_DEP_1)
	v_lshlrev_b64_e32 v[40:41], v119, v[64:65]
	v_dual_sub_nc_u32 v30, 30, v30 :: v_dual_bitop2_b32 v119, 3, v40 bitop3:0x40
; %bb.1250:                             ;   in Loop: Header=BB0_979 Depth=2
	s_or_b32 exec_lo, exec_lo, s21
	v_lshlrev_b32_e32 v117, 24, v117
	s_delay_alu instid0(VALU_DEP_1) | instskip(NEXT) | instid1(VALU_DEP_1)
	v_and_b32_e32 v117, 0x80000000, v117
	v_lshl_add_u32 v30, v30, 23, v117
                                        ; implicit-def: $vgpr117
	s_delay_alu instid0(VALU_DEP_1) | instskip(NEXT) | instid1(VALU_DEP_1)
	v_lshl_or_b32 v30, v119, 21, v30
                                        ; implicit-def: $vgpr119
	v_add_nc_u32_e32 v30, 0x38000000, v30
.LBB0_1251:                             ;   in Loop: Header=BB0_979 Depth=2
	s_and_not1_saveexec_b32 s20, s20
; %bb.1252:                             ;   in Loop: Header=BB0_979 Depth=2
	v_and_b32_e32 v30, 0x80, v117
	s_delay_alu instid0(VALU_DEP_1) | instskip(SKIP_2) | instid1(VALU_DEP_2)
	v_cmp_eq_u32_e32 vcc_lo, 0, v30
	v_cndmask_b32_e32 v30, 0xff800000, v21, vcc_lo
	v_cmp_eq_u32_e32 vcc_lo, 0, v119
	v_cndmask_b32_e32 v30, 0x7f800001, v30, vcc_lo
; %bb.1253:                             ;   in Loop: Header=BB0_979 Depth=2
	s_or_b32 exec_lo, exec_lo, s20
.LBB0_1254:                             ;   in Loop: Header=BB0_979 Depth=2
	s_delay_alu instid0(SALU_CYCLE_1)
	s_or_b32 exec_lo, exec_lo, s19
.LBB0_1255:                             ;   in Loop: Header=BB0_979 Depth=2
	s_delay_alu instid0(SALU_CYCLE_1) | instskip(NEXT) | instid1(VALU_DEP_1)
	s_or_b32 exec_lo, exec_lo, s7
	v_dual_add_f32 v40, v118, v30 :: v_dual_mov_b32 v63, v65
	v_mov_b32_e32 v119, v65
                                        ; implicit-def: $vgpr117
	s_mov_b32 s7, exec_lo
	s_delay_alu instid0(VALU_DEP_2) | instskip(SKIP_2) | instid1(VALU_DEP_3)
	v_and_b32_e32 v62, 0x7f800000, v40
	v_and_b32_e32 v118, 0x7fffff, v40
	v_lshrrev_b32_e32 v30, 24, v40
	v_cmpx_ne_u64_e32 0x7f800000, v[62:63]
	s_xor_b32 s19, exec_lo, s7
	s_cbranch_execz .LBB0_1269
; %bb.1256:                             ;   in Loop: Header=BB0_979 Depth=2
	v_and_b32_e32 v62, 0x7fffffff, v40
	v_mov_b32_e32 v63, v65
	v_and_b32_e32 v30, 0x80, v30
                                        ; implicit-def: $vgpr117
	s_mov_b32 s7, exec_lo
	s_delay_alu instid0(VALU_DEP_2)
	v_cmpx_gt_u64_e32 0x47600001, v[62:63]
	s_xor_b32 s20, exec_lo, s7
	s_cbranch_execz .LBB0_1266
; %bb.1257:                             ;   in Loop: Header=BB0_979 Depth=2
	v_mov_b32_e32 v117, 0
	s_mov_b32 s21, exec_lo
	v_cmpx_ne_u32_e32 0, v40
	s_cbranch_execz .LBB0_1265
; %bb.1258:                             ;   in Loop: Header=BB0_979 Depth=2
	v_bfe_u32 v117, v40, 23, 8
	v_or_b32_e32 v62, 0x800000, v118
	s_delay_alu instid0(VALU_DEP_2) | instskip(SKIP_1) | instid1(VALU_DEP_2)
	v_sub_nc_u32_e32 v40, 0x71, v117
	v_cmp_gt_u32_e32 vcc_lo, 0x72, v117
	v_cndmask_b32_e32 v40, 0, v40, vcc_lo
	v_cmp_eq_u32_e32 vcc_lo, 0, v117
	v_cndmask_b32_e32 v118, v62, v118, vcc_lo
	s_delay_alu instid0(VALU_DEP_3) | instskip(NEXT) | instid1(VALU_DEP_1)
	v_cndmask_b32_e64 v44, v40, 0x70, vcc_lo
	v_dual_add_nc_u32 v40, 21, v44 :: v_dual_add_nc_u32 v63, 20, v44
	s_delay_alu instid0(VALU_DEP_1) | instskip(NEXT) | instid1(VALU_DEP_2)
	v_lshlrev_b64_e64 v[40:41], v40, -1
	v_lshlrev_b64_e64 v[62:63], v63, 1
	s_delay_alu instid0(VALU_DEP_2) | instskip(SKIP_1) | instid1(VALU_DEP_4)
	v_bfi_b32 v40, v40, 0, v118
	v_lshrrev_b64 v[118:119], v44, v[118:119]
	v_bfi_b32 v41, v41, 0, 0
	s_delay_alu instid0(VALU_DEP_1) | instskip(NEXT) | instid1(VALU_DEP_3)
	v_cmp_eq_u64_e64 s7, v[40:41], v[62:63]
	v_mov_b64_e32 v[40:41], v[118:119]
	s_and_saveexec_b32 s22, s7
; %bb.1259:                             ;   in Loop: Header=BB0_979 Depth=2
	v_bfe_u32 v40, v118, 21, 1
	v_mov_b32_e32 v41, v65
	s_delay_alu instid0(VALU_DEP_1) | instskip(NEXT) | instid1(VALU_DEP_1)
	v_add_nc_u64_e32 v[40:41], v[118:119], v[40:41]
	v_add_nc_u64_e32 v[40:41], -1, v[40:41]
; %bb.1260:                             ;   in Loop: Header=BB0_979 Depth=2
	s_or_b32 exec_lo, exec_lo, s22
	v_add_nc_u32_e32 v117, 0xffffff81, v117
	v_lshrrev_b32_e32 v119, 23, v118
	s_mov_b32 s7, exec_lo
	s_delay_alu instid0(VALU_DEP_2) | instskip(NEXT) | instid1(VALU_DEP_1)
	v_cndmask_b32_e64 v117, v117, 0xffffff82, vcc_lo
	v_add3_u32 v41, v44, v117, v119
	v_and_b32_e32 v117, 0x1fffff, v40
	s_delay_alu instid0(VALU_DEP_2) | instskip(NEXT) | instid1(VALU_DEP_2)
	v_dual_mov_b32 v119, v65 :: v_dual_add_nc_u32 v40, 14, v41
	v_add_nc_u32_e32 v118, v117, v118
                                        ; implicit-def: $vgpr117
	s_delay_alu instid0(VALU_DEP_2)
	v_cmpx_ne_u32_e32 0, v40
	s_xor_b32 s7, exec_lo, s7
; %bb.1261:                             ;   in Loop: Header=BB0_979 Depth=2
	s_delay_alu instid0(VALU_DEP_2) | instskip(SKIP_1) | instid1(VALU_DEP_1)
	v_cmp_lt_u64_e32 vcc_lo, 0xffffff, v[118:119]
	v_add_nc_u32_e32 v117, 15, v41
	v_cndmask_b32_e32 v117, v40, v117, vcc_lo
	v_cndmask_b32_e64 v40, 0, 1, vcc_lo
	s_delay_alu instid0(VALU_DEP_1)
	v_lshrrev_b64 v[118:119], v40, v[118:119]
; %bb.1262:                             ;   in Loop: Header=BB0_979 Depth=2
	s_and_not1_saveexec_b32 s7, s7
; %bb.1263:                             ;   in Loop: Header=BB0_979 Depth=2
	s_delay_alu instid0(VALU_DEP_1)
	v_bfe_u32 v117, v118, 23, 1
; %bb.1264:                             ;   in Loop: Header=BB0_979 Depth=2
	s_or_b32 exec_lo, exec_lo, s7
	s_delay_alu instid0(VALU_DEP_2) | instskip(NEXT) | instid1(VALU_DEP_2)
	v_lshrrev_b64 v[118:119], 21, v[118:119]
	v_cmp_gt_i32_e32 vcc_lo, 32, v117
	v_min_i32_e32 v40, 31, v117
	v_cmp_eq_u32_e64 s7, 0, v117
	s_delay_alu instid0(VALU_DEP_2) | instskip(SKIP_1) | instid1(VALU_DEP_2)
	v_dual_cndmask_b32 v119, 0, v119 :: v_dual_lshlrev_b32 v40, 2, v40
	v_cndmask_b32_e32 v118, 3, v118, vcc_lo
	v_and_b32_e32 v40, 0xfc, v40
	s_delay_alu instid0(VALU_DEP_2) | instskip(NEXT) | instid1(VALU_DEP_2)
	v_cmp_eq_u64_e32 vcc_lo, 0, v[118:119]
	v_and_or_b32 v117, v118, 3, v40
	s_and_b32 s7, s7, vcc_lo
	s_delay_alu instid0(VALU_DEP_1) | instid1(SALU_CYCLE_1)
	v_cndmask_b32_e64 v117, v117, 0, s7
	s_delay_alu instid0(VALU_DEP_1)
	v_or_b32_e32 v117, v117, v30
.LBB0_1265:                             ;   in Loop: Header=BB0_979 Depth=2
	s_or_b32 exec_lo, exec_lo, s21
                                        ; implicit-def: $vgpr30
.LBB0_1266:                             ;   in Loop: Header=BB0_979 Depth=2
	s_and_not1_saveexec_b32 s7, s20
; %bb.1267:                             ;   in Loop: Header=BB0_979 Depth=2
	v_or_b32_e32 v117, 0x7b, v30
; %bb.1268:                             ;   in Loop: Header=BB0_979 Depth=2
	s_or_b32 exec_lo, exec_lo, s7
                                        ; implicit-def: $vgpr40
                                        ; implicit-def: $vgpr118_vgpr119
                                        ; implicit-def: $vgpr30
.LBB0_1269:                             ;   in Loop: Header=BB0_979 Depth=2
	s_and_not1_saveexec_b32 s7, s19
	s_cbranch_execz .LBB0_1275
; %bb.1270:                             ;   in Loop: Header=BB0_979 Depth=2
	s_mov_b32 s19, exec_lo
                                        ; implicit-def: $vgpr117
	v_cmpx_ne_u64_e32 0, v[118:119]
	s_xor_b32 s19, exec_lo, s19
; %bb.1271:                             ;   in Loop: Header=BB0_979 Depth=2
	v_or_b32_e32 v117, 0x7f, v30
                                        ; implicit-def: $vgpr40
; %bb.1272:                             ;   in Loop: Header=BB0_979 Depth=2
	s_and_not1_saveexec_b32 s19, s19
; %bb.1273:                             ;   in Loop: Header=BB0_979 Depth=2
	v_cmp_lt_i32_e32 vcc_lo, -1, v40
	v_cndmask_b32_e32 v117, 0xfc, v59, vcc_lo
; %bb.1274:                             ;   in Loop: Header=BB0_979 Depth=2
	s_or_b32 exec_lo, exec_lo, s19
.LBB0_1275:                             ;   in Loop: Header=BB0_979 Depth=2
	s_delay_alu instid0(SALU_CYCLE_1) | instskip(SKIP_3) | instid1(VALU_DEP_2)
	s_or_b32 exec_lo, exec_lo, s7
	v_lshrrev_b16 v118, 8, v2
	v_dual_mov_b32 v30, 0 :: v_dual_mov_b32 v40, 0
	s_mov_b32 s7, exec_lo
	v_cmpx_ne_u16_e32 0, v118
	s_cbranch_execz .LBB0_1285
; %bb.1276:                             ;   in Loop: Header=BB0_979 Depth=2
	v_bfrev_b32_e32 v40, 1
	s_mov_b32 s19, exec_lo
	v_cmpx_ne_u16_e32 0x80, v118
	s_cbranch_execz .LBB0_1284
; %bb.1277:                             ;   in Loop: Header=BB0_979 Depth=2
	v_and_b32_e32 v41, 0xffff, v118
	s_delay_alu instid0(VALU_DEP_1) | instskip(SKIP_1) | instid1(VALU_DEP_2)
	v_and_b32_e32 v40, 0x7c, v41
	v_and_b32_e32 v119, 3, v41
	v_cmp_ne_u32_e32 vcc_lo, 0x7c, v40
                                        ; implicit-def: $vgpr40
	s_and_saveexec_b32 s20, vcc_lo
	s_delay_alu instid0(SALU_CYCLE_1)
	s_xor_b32 s20, exec_lo, s20
	s_cbranch_execz .LBB0_1281
; %bb.1278:                             ;   in Loop: Header=BB0_979 Depth=2
	v_bfe_u32 v40, v41, 2, 5
	s_mov_b32 s21, exec_lo
	s_delay_alu instid0(VALU_DEP_1)
	v_cmpx_eq_u32_e32 0, v40
	s_cbranch_execz .LBB0_1280
; %bb.1279:                             ;   in Loop: Header=BB0_979 Depth=2
	v_clz_i32_u32_e32 v119, v119
	s_delay_alu instid0(VALU_DEP_1) | instskip(SKIP_1) | instid1(VALU_DEP_2)
	v_min_u32_e32 v40, 32, v119
	v_mov_b32_e32 v119, v65
	v_subrev_nc_u32_e32 v41, 29, v40
	v_sub_nc_u32_e32 v40, 30, v40
	s_delay_alu instid0(VALU_DEP_2) | instskip(NEXT) | instid1(VALU_DEP_1)
	v_lshlrev_b64_e32 v[118:119], v41, v[118:119]
	v_and_b32_e32 v119, 3, v118
.LBB0_1280:                             ;   in Loop: Header=BB0_979 Depth=2
	s_or_b32 exec_lo, exec_lo, s21
	v_lshlrev_b32_e32 v118, 16, v2
	s_delay_alu instid0(VALU_DEP_1) | instskip(NEXT) | instid1(VALU_DEP_1)
	v_and_b32_e32 v118, 0x80000000, v118
	v_lshl_add_u32 v118, v40, 23, v118
	s_delay_alu instid0(VALU_DEP_1) | instskip(NEXT) | instid1(VALU_DEP_1)
	v_lshl_or_b32 v118, v119, 21, v118
                                        ; implicit-def: $vgpr119
	v_add_nc_u32_e32 v40, 0x38000000, v118
.LBB0_1281:                             ;   in Loop: Header=BB0_979 Depth=2
	s_and_not1_saveexec_b32 s20, s20
; %bb.1282:                             ;   in Loop: Header=BB0_979 Depth=2
	v_cmp_lt_i16_e32 vcc_lo, -1, v2
	v_cndmask_b32_e32 v118, 0xff800000, v21, vcc_lo
	v_cmp_eq_u32_e32 vcc_lo, 0, v119
	s_delay_alu instid0(VALU_DEP_2)
	v_cndmask_b32_e32 v40, 0x7f800001, v118, vcc_lo
; %bb.1283:                             ;   in Loop: Header=BB0_979 Depth=2
	s_or_b32 exec_lo, exec_lo, s20
.LBB0_1284:                             ;   in Loop: Header=BB0_979 Depth=2
	s_delay_alu instid0(SALU_CYCLE_1)
	s_or_b32 exec_lo, exec_lo, s19
.LBB0_1285:                             ;   in Loop: Header=BB0_979 Depth=2
	s_delay_alu instid0(SALU_CYCLE_1) | instskip(SKIP_2) | instid1(VALU_DEP_1)
	s_or_b32 exec_lo, exec_lo, s7
	v_lshrrev_b16 v118, 8, v3
	s_mov_b32 s7, exec_lo
	v_cmpx_ne_u16_e32 0, v118
	s_cbranch_execz .LBB0_1295
; %bb.1286:                             ;   in Loop: Header=BB0_979 Depth=2
	v_bfrev_b32_e32 v30, 1
	s_mov_b32 s19, exec_lo
	v_cmpx_ne_u16_e32 0x80, v118
	s_cbranch_execz .LBB0_1294
; %bb.1287:                             ;   in Loop: Header=BB0_979 Depth=2
	v_and_b32_e32 v41, 0xffff, v118
	s_delay_alu instid0(VALU_DEP_1) | instskip(SKIP_1) | instid1(VALU_DEP_2)
	v_and_b32_e32 v30, 0x7c, v41
	v_and_b32_e32 v119, 3, v41
	v_cmp_ne_u32_e32 vcc_lo, 0x7c, v30
                                        ; implicit-def: $vgpr30
	s_and_saveexec_b32 s20, vcc_lo
	s_delay_alu instid0(SALU_CYCLE_1)
	s_xor_b32 s20, exec_lo, s20
	s_cbranch_execz .LBB0_1291
; %bb.1288:                             ;   in Loop: Header=BB0_979 Depth=2
	v_bfe_u32 v30, v41, 2, 5
	s_mov_b32 s21, exec_lo
	s_delay_alu instid0(VALU_DEP_1)
	v_cmpx_eq_u32_e32 0, v30
	s_cbranch_execz .LBB0_1290
; %bb.1289:                             ;   in Loop: Header=BB0_979 Depth=2
	v_clz_i32_u32_e32 v30, v119
	s_delay_alu instid0(VALU_DEP_1) | instskip(SKIP_1) | instid1(VALU_DEP_2)
	v_min_u32_e32 v30, 32, v30
	v_mov_b32_e32 v119, v65
	v_subrev_nc_u32_e32 v41, 29, v30
	v_sub_nc_u32_e32 v30, 30, v30
	s_delay_alu instid0(VALU_DEP_2) | instskip(NEXT) | instid1(VALU_DEP_1)
	v_lshlrev_b64_e32 v[118:119], v41, v[118:119]
	v_and_b32_e32 v119, 3, v118
.LBB0_1290:                             ;   in Loop: Header=BB0_979 Depth=2
	s_or_b32 exec_lo, exec_lo, s21
	v_lshlrev_b32_e32 v3, 16, v3
	s_delay_alu instid0(VALU_DEP_1) | instskip(NEXT) | instid1(VALU_DEP_1)
	v_and_b32_e32 v3, 0x80000000, v3
	v_lshl_add_u32 v3, v30, 23, v3
	s_delay_alu instid0(VALU_DEP_1) | instskip(NEXT) | instid1(VALU_DEP_1)
	v_lshl_or_b32 v3, v119, 21, v3
                                        ; implicit-def: $vgpr119
	v_add_nc_u32_e32 v30, 0x38000000, v3
                                        ; implicit-def: $vgpr3
.LBB0_1291:                             ;   in Loop: Header=BB0_979 Depth=2
	s_and_not1_saveexec_b32 s20, s20
; %bb.1292:                             ;   in Loop: Header=BB0_979 Depth=2
	v_cmp_lt_i16_e32 vcc_lo, -1, v3
	v_cndmask_b32_e32 v3, 0xff800000, v21, vcc_lo
	v_cmp_eq_u32_e32 vcc_lo, 0, v119
	s_delay_alu instid0(VALU_DEP_2)
	v_cndmask_b32_e32 v30, 0x7f800001, v3, vcc_lo
; %bb.1293:                             ;   in Loop: Header=BB0_979 Depth=2
	s_or_b32 exec_lo, exec_lo, s20
.LBB0_1294:                             ;   in Loop: Header=BB0_979 Depth=2
	s_delay_alu instid0(SALU_CYCLE_1)
	s_or_b32 exec_lo, exec_lo, s19
.LBB0_1295:                             ;   in Loop: Header=BB0_979 Depth=2
	s_delay_alu instid0(SALU_CYCLE_1) | instskip(NEXT) | instid1(VALU_DEP_1)
	s_or_b32 exec_lo, exec_lo, s7
	v_dual_add_f32 v30, v40, v30 :: v_dual_mov_b32 v41, v65
	v_mov_b32_e32 v119, v65
                                        ; implicit-def: $vgpr44
	s_mov_b32 s7, exec_lo
	s_delay_alu instid0(VALU_DEP_2) | instskip(SKIP_2) | instid1(VALU_DEP_3)
	v_and_b32_e32 v40, 0x7f800000, v30
	v_and_b32_e32 v118, 0x7fffff, v30
	v_lshrrev_b32_e32 v3, 24, v30
	v_cmpx_ne_u64_e32 0x7f800000, v[40:41]
	s_xor_b32 s19, exec_lo, s7
	s_cbranch_execz .LBB0_1309
; %bb.1296:                             ;   in Loop: Header=BB0_979 Depth=2
	v_and_b32_e32 v40, 0x7fffffff, v30
	v_mov_b32_e32 v41, v65
	v_and_b32_e32 v3, 0x80, v3
                                        ; implicit-def: $vgpr44
	s_mov_b32 s7, exec_lo
	s_delay_alu instid0(VALU_DEP_2)
	v_cmpx_gt_u64_e32 0x47600001, v[40:41]
	s_xor_b32 s20, exec_lo, s7
	s_cbranch_execz .LBB0_1306
; %bb.1297:                             ;   in Loop: Header=BB0_979 Depth=2
	v_mov_b32_e32 v44, 0
	s_mov_b32 s21, exec_lo
	v_cmpx_ne_u32_e32 0, v30
	s_cbranch_execz .LBB0_1305
; %bb.1298:                             ;   in Loop: Header=BB0_979 Depth=2
	v_bfe_u32 v30, v30, 23, 8
	v_or_b32_e32 v62, 0x800000, v118
	s_delay_alu instid0(VALU_DEP_2) | instskip(SKIP_1) | instid1(VALU_DEP_2)
	v_sub_nc_u32_e32 v40, 0x71, v30
	v_cmp_gt_u32_e32 vcc_lo, 0x72, v30
	v_cndmask_b32_e32 v40, 0, v40, vcc_lo
	v_cmp_eq_u32_e32 vcc_lo, 0, v30
	v_cndmask_b32_e32 v118, v62, v118, vcc_lo
	s_delay_alu instid0(VALU_DEP_3) | instskip(NEXT) | instid1(VALU_DEP_1)
	v_cndmask_b32_e64 v44, v40, 0x70, vcc_lo
	v_dual_add_nc_u32 v40, 21, v44 :: v_dual_add_nc_u32 v63, 20, v44
	s_delay_alu instid0(VALU_DEP_1) | instskip(NEXT) | instid1(VALU_DEP_2)
	v_lshlrev_b64_e64 v[40:41], v40, -1
	v_lshlrev_b64_e64 v[62:63], v63, 1
	s_delay_alu instid0(VALU_DEP_2) | instskip(SKIP_1) | instid1(VALU_DEP_4)
	v_bfi_b32 v40, v40, 0, v118
	v_lshrrev_b64 v[118:119], v44, v[118:119]
	v_bfi_b32 v41, v41, 0, 0
	s_delay_alu instid0(VALU_DEP_1) | instskip(NEXT) | instid1(VALU_DEP_3)
	v_cmp_eq_u64_e64 s7, v[40:41], v[62:63]
	v_mov_b64_e32 v[40:41], v[118:119]
	s_and_saveexec_b32 s22, s7
; %bb.1299:                             ;   in Loop: Header=BB0_979 Depth=2
	v_bfe_u32 v40, v118, 21, 1
	v_mov_b32_e32 v41, v65
	s_delay_alu instid0(VALU_DEP_1) | instskip(NEXT) | instid1(VALU_DEP_1)
	v_add_nc_u64_e32 v[40:41], v[118:119], v[40:41]
	v_add_nc_u64_e32 v[40:41], -1, v[40:41]
; %bb.1300:                             ;   in Loop: Header=BB0_979 Depth=2
	s_or_b32 exec_lo, exec_lo, s22
	v_add_nc_u32_e32 v30, 0xffffff81, v30
	v_lshrrev_b32_e32 v119, 23, v118
	s_mov_b32 s7, exec_lo
	s_delay_alu instid0(VALU_DEP_2) | instskip(NEXT) | instid1(VALU_DEP_1)
	v_cndmask_b32_e64 v30, v30, 0xffffff82, vcc_lo
	v_add3_u32 v41, v44, v30, v119
	v_and_b32_e32 v30, 0x1fffff, v40
	s_delay_alu instid0(VALU_DEP_2) | instskip(NEXT) | instid1(VALU_DEP_2)
	v_dual_mov_b32 v119, v65 :: v_dual_add_nc_u32 v40, 14, v41
	v_add_nc_u32_e32 v118, v30, v118
                                        ; implicit-def: $vgpr30
	s_delay_alu instid0(VALU_DEP_2)
	v_cmpx_ne_u32_e32 0, v40
	s_xor_b32 s7, exec_lo, s7
; %bb.1301:                             ;   in Loop: Header=BB0_979 Depth=2
	s_delay_alu instid0(VALU_DEP_2) | instskip(SKIP_1) | instid1(VALU_DEP_1)
	v_cmp_lt_u64_e32 vcc_lo, 0xffffff, v[118:119]
	v_add_nc_u32_e32 v30, 15, v41
	v_cndmask_b32_e32 v30, v40, v30, vcc_lo
	v_cndmask_b32_e64 v40, 0, 1, vcc_lo
	s_delay_alu instid0(VALU_DEP_1)
	v_lshrrev_b64 v[118:119], v40, v[118:119]
; %bb.1302:                             ;   in Loop: Header=BB0_979 Depth=2
	s_and_not1_saveexec_b32 s7, s7
; %bb.1303:                             ;   in Loop: Header=BB0_979 Depth=2
	s_delay_alu instid0(VALU_DEP_1)
	v_bfe_u32 v30, v118, 23, 1
; %bb.1304:                             ;   in Loop: Header=BB0_979 Depth=2
	s_or_b32 exec_lo, exec_lo, s7
	s_delay_alu instid0(VALU_DEP_2) | instskip(NEXT) | instid1(VALU_DEP_2)
	v_lshrrev_b64 v[118:119], 21, v[118:119]
	v_cmp_gt_i32_e32 vcc_lo, 32, v30
	v_min_i32_e32 v40, 31, v30
	v_cmp_eq_u32_e64 s7, 0, v30
	s_delay_alu instid0(VALU_DEP_2) | instskip(SKIP_1) | instid1(VALU_DEP_2)
	v_dual_cndmask_b32 v119, 0, v119 :: v_dual_lshlrev_b32 v40, 2, v40
	v_cndmask_b32_e32 v118, 3, v118, vcc_lo
	v_and_b32_e32 v40, 0xfc, v40
	s_delay_alu instid0(VALU_DEP_2) | instskip(NEXT) | instid1(VALU_DEP_2)
	v_cmp_eq_u64_e32 vcc_lo, 0, v[118:119]
	v_and_or_b32 v30, v118, 3, v40
	s_and_b32 s7, s7, vcc_lo
	s_delay_alu instid0(VALU_DEP_1) | instid1(SALU_CYCLE_1)
	v_cndmask_b32_e64 v30, v30, 0, s7
	s_delay_alu instid0(VALU_DEP_1)
	v_or_b32_e32 v44, v30, v3
.LBB0_1305:                             ;   in Loop: Header=BB0_979 Depth=2
	s_or_b32 exec_lo, exec_lo, s21
                                        ; implicit-def: $vgpr3
.LBB0_1306:                             ;   in Loop: Header=BB0_979 Depth=2
	s_and_not1_saveexec_b32 s7, s20
; %bb.1307:                             ;   in Loop: Header=BB0_979 Depth=2
	v_or_b32_e32 v44, 0x7b, v3
; %bb.1308:                             ;   in Loop: Header=BB0_979 Depth=2
	s_or_b32 exec_lo, exec_lo, s7
                                        ; implicit-def: $vgpr30
                                        ; implicit-def: $vgpr118_vgpr119
                                        ; implicit-def: $vgpr3
.LBB0_1309:                             ;   in Loop: Header=BB0_979 Depth=2
	s_and_not1_saveexec_b32 s7, s19
	s_cbranch_execz .LBB0_1315
; %bb.1310:                             ;   in Loop: Header=BB0_979 Depth=2
	s_mov_b32 s19, exec_lo
                                        ; implicit-def: $vgpr44
	v_cmpx_ne_u64_e32 0, v[118:119]
	s_xor_b32 s19, exec_lo, s19
; %bb.1311:                             ;   in Loop: Header=BB0_979 Depth=2
	v_or_b32_e32 v44, 0x7f, v3
                                        ; implicit-def: $vgpr30
; %bb.1312:                             ;   in Loop: Header=BB0_979 Depth=2
	s_and_not1_saveexec_b32 s19, s19
; %bb.1313:                             ;   in Loop: Header=BB0_979 Depth=2
	v_cmp_lt_i32_e32 vcc_lo, -1, v30
	v_cndmask_b32_e32 v44, 0xfc, v59, vcc_lo
; %bb.1314:                             ;   in Loop: Header=BB0_979 Depth=2
	s_or_b32 exec_lo, exec_lo, s19
.LBB0_1315:                             ;   in Loop: Header=BB0_979 Depth=2
	s_delay_alu instid0(SALU_CYCLE_1) | instskip(SKIP_3) | instid1(VALU_DEP_2)
	s_or_b32 exec_lo, exec_lo, s7
	v_dual_lshrrev_b32 v30, 16, v2 :: v_dual_mov_b32 v118, 0
	v_mov_b32_e32 v3, 0
	s_mov_b32 s7, exec_lo
	v_and_b32_e32 v119, 0xff, v30
	s_delay_alu instid0(VALU_DEP_1)
	v_cmpx_ne_u16_e32 0, v119
	s_cbranch_execz .LBB0_1325
; %bb.1316:                             ;   in Loop: Header=BB0_979 Depth=2
	v_bfrev_b32_e32 v3, 1
	s_mov_b32 s19, exec_lo
	v_cmpx_ne_u16_e32 0x80, v119
	s_cbranch_execz .LBB0_1324
; %bb.1317:                             ;   in Loop: Header=BB0_979 Depth=2
	v_and_b32_e32 v3, 0x7c0000, v2
	v_bfe_u32 v119, v2, 16, 2
	s_delay_alu instid0(VALU_DEP_2) | instskip(SKIP_1) | instid1(SALU_CYCLE_1)
	v_cmp_ne_u32_e32 vcc_lo, 0x7c0000, v3
                                        ; implicit-def: $vgpr3
	s_and_saveexec_b32 s20, vcc_lo
	s_xor_b32 s20, exec_lo, s20
	s_cbranch_execz .LBB0_1321
; %bb.1318:                             ;   in Loop: Header=BB0_979 Depth=2
	v_bfe_u32 v3, v2, 18, 5
	s_mov_b32 s21, exec_lo
	s_delay_alu instid0(VALU_DEP_1)
	v_cmpx_eq_u32_e32 0, v3
; %bb.1319:                             ;   in Loop: Header=BB0_979 Depth=2
	v_clz_i32_u32_e32 v3, v119
	s_delay_alu instid0(VALU_DEP_1) | instskip(NEXT) | instid1(VALU_DEP_1)
	v_min_u32_e32 v3, 32, v3
	v_subrev_nc_u32_e32 v119, 29, v3
	s_delay_alu instid0(VALU_DEP_1) | instskip(NEXT) | instid1(VALU_DEP_1)
	v_lshlrev_b64_e32 v[40:41], v119, v[30:31]
	v_dual_sub_nc_u32 v3, 30, v3 :: v_dual_bitop2_b32 v119, 3, v40 bitop3:0x40
; %bb.1320:                             ;   in Loop: Header=BB0_979 Depth=2
	s_or_b32 exec_lo, exec_lo, s21
	v_lshlrev_b32_e32 v30, 24, v30
	s_delay_alu instid0(VALU_DEP_1) | instskip(NEXT) | instid1(VALU_DEP_1)
	v_and_b32_e32 v30, 0x80000000, v30
	v_lshl_add_u32 v3, v3, 23, v30
                                        ; implicit-def: $vgpr30
	s_delay_alu instid0(VALU_DEP_1) | instskip(NEXT) | instid1(VALU_DEP_1)
	v_lshl_or_b32 v3, v119, 21, v3
                                        ; implicit-def: $vgpr119
	v_add_nc_u32_e32 v3, 0x38000000, v3
.LBB0_1321:                             ;   in Loop: Header=BB0_979 Depth=2
	s_and_not1_saveexec_b32 s20, s20
; %bb.1322:                             ;   in Loop: Header=BB0_979 Depth=2
	v_bfe_i32 v3, v30, 0, 8
	s_delay_alu instid0(VALU_DEP_1) | instskip(SKIP_2) | instid1(VALU_DEP_2)
	v_cmp_lt_i16_e32 vcc_lo, -1, v3
	v_cndmask_b32_e32 v3, 0xff800000, v21, vcc_lo
	v_cmp_eq_u32_e32 vcc_lo, 0, v119
	v_cndmask_b32_e32 v3, 0x7f800001, v3, vcc_lo
; %bb.1323:                             ;   in Loop: Header=BB0_979 Depth=2
	s_or_b32 exec_lo, exec_lo, s20
.LBB0_1324:                             ;   in Loop: Header=BB0_979 Depth=2
	s_delay_alu instid0(SALU_CYCLE_1)
	s_or_b32 exec_lo, exec_lo, s19
.LBB0_1325:                             ;   in Loop: Header=BB0_979 Depth=2
	s_delay_alu instid0(SALU_CYCLE_1) | instskip(SKIP_2) | instid1(VALU_DEP_1)
	s_or_b32 exec_lo, exec_lo, s7
	v_lshrrev_b32_e32 v30, 16, v64
	s_mov_b32 s7, exec_lo
	v_and_b32_e32 v119, 0xff, v30
	s_delay_alu instid0(VALU_DEP_1)
	v_cmpx_ne_u16_e32 0, v119
	s_cbranch_execz .LBB0_1335
; %bb.1326:                             ;   in Loop: Header=BB0_979 Depth=2
	v_bfrev_b32_e32 v118, 1
	s_mov_b32 s19, exec_lo
	v_cmpx_ne_u16_e32 0x80, v119
	s_cbranch_execz .LBB0_1334
; %bb.1327:                             ;   in Loop: Header=BB0_979 Depth=2
	v_and_b32_e32 v118, 0x7c0000, v64
	v_bfe_u32 v119, v64, 16, 2
	s_delay_alu instid0(VALU_DEP_2) | instskip(SKIP_1) | instid1(SALU_CYCLE_1)
	v_cmp_ne_u32_e32 vcc_lo, 0x7c0000, v118
                                        ; implicit-def: $vgpr118
	s_and_saveexec_b32 s20, vcc_lo
	s_xor_b32 s20, exec_lo, s20
	s_cbranch_execz .LBB0_1331
; %bb.1328:                             ;   in Loop: Header=BB0_979 Depth=2
	v_bfe_u32 v118, v64, 18, 5
	v_lshrrev_b32_e32 v30, 16, v64
	s_mov_b32 s21, exec_lo
	s_delay_alu instid0(VALU_DEP_2)
	v_cmpx_eq_u32_e32 0, v118
; %bb.1329:                             ;   in Loop: Header=BB0_979 Depth=2
	v_clz_i32_u32_e32 v118, v119
	s_delay_alu instid0(VALU_DEP_1) | instskip(NEXT) | instid1(VALU_DEP_1)
	v_min_u32_e32 v118, 32, v118
	v_subrev_nc_u32_e32 v119, 29, v118
	s_delay_alu instid0(VALU_DEP_1) | instskip(NEXT) | instid1(VALU_DEP_1)
	v_lshlrev_b64_e32 v[40:41], v119, v[30:31]
	v_dual_sub_nc_u32 v118, 30, v118 :: v_dual_bitop2_b32 v119, 3, v40 bitop3:0x40
; %bb.1330:                             ;   in Loop: Header=BB0_979 Depth=2
	s_or_b32 exec_lo, exec_lo, s21
	v_lshlrev_b32_e32 v30, 24, v30
	s_delay_alu instid0(VALU_DEP_1) | instskip(NEXT) | instid1(VALU_DEP_1)
	v_and_b32_e32 v30, 0x80000000, v30
	v_lshl_add_u32 v30, v118, 23, v30
	s_delay_alu instid0(VALU_DEP_1) | instskip(NEXT) | instid1(VALU_DEP_1)
	v_lshl_or_b32 v30, v119, 21, v30
                                        ; implicit-def: $vgpr119
	v_add_nc_u32_e32 v118, 0x38000000, v30
                                        ; implicit-def: $vgpr30
.LBB0_1331:                             ;   in Loop: Header=BB0_979 Depth=2
	s_and_not1_saveexec_b32 s20, s20
; %bb.1332:                             ;   in Loop: Header=BB0_979 Depth=2
	v_bfe_i32 v30, v30, 0, 8
	s_delay_alu instid0(VALU_DEP_1) | instskip(SKIP_2) | instid1(VALU_DEP_2)
	v_cmp_lt_i16_e32 vcc_lo, -1, v30
	v_cndmask_b32_e32 v30, 0xff800000, v21, vcc_lo
	v_cmp_eq_u32_e32 vcc_lo, 0, v119
	v_cndmask_b32_e32 v118, 0x7f800001, v30, vcc_lo
; %bb.1333:                             ;   in Loop: Header=BB0_979 Depth=2
	s_or_b32 exec_lo, exec_lo, s20
.LBB0_1334:                             ;   in Loop: Header=BB0_979 Depth=2
	s_delay_alu instid0(SALU_CYCLE_1)
	s_or_b32 exec_lo, exec_lo, s19
.LBB0_1335:                             ;   in Loop: Header=BB0_979 Depth=2
	s_delay_alu instid0(SALU_CYCLE_1) | instskip(NEXT) | instid1(VALU_DEP_1)
	s_or_b32 exec_lo, exec_lo, s7
	v_dual_add_f32 v30, v3, v118 :: v_dual_mov_b32 v41, v65
	s_delay_alu instid0(VALU_DEP_1) | instskip(SKIP_2) | instid1(VALU_DEP_2)
	v_dual_mov_b32 v119, v65 :: v_dual_lshrrev_b32 v3, 24, v30
	v_and_b32_e32 v40, 0x7f800000, v30
	v_and_b32_e32 v118, 0x7fffff, v30
	v_cmp_ne_u64_e32 vcc_lo, 0x7f800000, v[40:41]
                                        ; implicit-def: $vgpr40
	s_and_saveexec_b32 s7, vcc_lo
	s_delay_alu instid0(SALU_CYCLE_1)
	s_xor_b32 s19, exec_lo, s7
	s_cbranch_execz .LBB0_1349
; %bb.1336:                             ;   in Loop: Header=BB0_979 Depth=2
	v_and_b32_e32 v40, 0x7fffffff, v30
	v_mov_b32_e32 v41, v65
	v_and_b32_e32 v3, 0x80, v3
	s_delay_alu instid0(VALU_DEP_2) | instskip(SKIP_1) | instid1(SALU_CYCLE_1)
	v_cmp_gt_u64_e32 vcc_lo, 0x47600001, v[40:41]
                                        ; implicit-def: $vgpr40
	s_and_saveexec_b32 s7, vcc_lo
	s_xor_b32 s20, exec_lo, s7
	s_cbranch_execz .LBB0_1346
; %bb.1337:                             ;   in Loop: Header=BB0_979 Depth=2
	v_mov_b32_e32 v40, 0
	s_mov_b32 s21, exec_lo
	v_cmpx_ne_u32_e32 0, v30
	s_cbranch_execz .LBB0_1345
; %bb.1338:                             ;   in Loop: Header=BB0_979 Depth=2
	v_bfe_u32 v30, v30, 23, 8
	v_or_b32_e32 v63, 0x800000, v118
	s_delay_alu instid0(VALU_DEP_2) | instskip(SKIP_1) | instid1(VALU_DEP_2)
	v_sub_nc_u32_e32 v40, 0x71, v30
	v_cmp_gt_u32_e32 vcc_lo, 0x72, v30
	v_cndmask_b32_e32 v40, 0, v40, vcc_lo
	v_cmp_eq_u32_e32 vcc_lo, 0, v30
	s_delay_alu instid0(VALU_DEP_2) | instskip(SKIP_1) | instid1(VALU_DEP_2)
	v_cndmask_b32_e64 v62, v40, 0x70, vcc_lo
	v_cndmask_b32_e32 v118, v63, v118, vcc_lo
	v_dual_add_nc_u32 v40, 21, v62 :: v_dual_add_nc_u32 v72, 20, v62
	s_delay_alu instid0(VALU_DEP_1) | instskip(NEXT) | instid1(VALU_DEP_2)
	v_lshlrev_b64_e64 v[40:41], v40, -1
	v_lshlrev_b64_e64 v[72:73], v72, 1
	s_delay_alu instid0(VALU_DEP_2) | instskip(SKIP_1) | instid1(VALU_DEP_4)
	v_bfi_b32 v40, v40, 0, v118
	v_lshrrev_b64 v[118:119], v62, v[118:119]
	v_bfi_b32 v41, v41, 0, 0
	s_delay_alu instid0(VALU_DEP_1) | instskip(NEXT) | instid1(VALU_DEP_3)
	v_cmp_eq_u64_e64 s7, v[40:41], v[72:73]
	v_mov_b64_e32 v[40:41], v[118:119]
	s_and_saveexec_b32 s22, s7
; %bb.1339:                             ;   in Loop: Header=BB0_979 Depth=2
	v_bfe_u32 v40, v118, 21, 1
	v_mov_b32_e32 v41, v65
	s_delay_alu instid0(VALU_DEP_1) | instskip(NEXT) | instid1(VALU_DEP_1)
	v_add_nc_u64_e32 v[40:41], v[118:119], v[40:41]
	v_add_nc_u64_e32 v[40:41], -1, v[40:41]
; %bb.1340:                             ;   in Loop: Header=BB0_979 Depth=2
	s_or_b32 exec_lo, exec_lo, s22
	v_add_nc_u32_e32 v30, 0xffffff81, v30
	v_lshrrev_b32_e32 v119, 23, v118
	s_mov_b32 s7, exec_lo
	s_delay_alu instid0(VALU_DEP_2) | instskip(NEXT) | instid1(VALU_DEP_1)
	v_cndmask_b32_e64 v30, v30, 0xffffff82, vcc_lo
	v_add3_u32 v41, v62, v30, v119
	v_and_b32_e32 v30, 0x1fffff, v40
	s_delay_alu instid0(VALU_DEP_2) | instskip(NEXT) | instid1(VALU_DEP_2)
	v_dual_mov_b32 v119, v65 :: v_dual_add_nc_u32 v40, 14, v41
	v_add_nc_u32_e32 v118, v30, v118
                                        ; implicit-def: $vgpr30
	s_delay_alu instid0(VALU_DEP_2)
	v_cmpx_ne_u32_e32 0, v40
	s_xor_b32 s7, exec_lo, s7
; %bb.1341:                             ;   in Loop: Header=BB0_979 Depth=2
	s_delay_alu instid0(VALU_DEP_2) | instskip(SKIP_1) | instid1(VALU_DEP_1)
	v_cmp_lt_u64_e32 vcc_lo, 0xffffff, v[118:119]
	v_add_nc_u32_e32 v30, 15, v41
	v_cndmask_b32_e32 v30, v40, v30, vcc_lo
	v_cndmask_b32_e64 v40, 0, 1, vcc_lo
	s_delay_alu instid0(VALU_DEP_1)
	v_lshrrev_b64 v[118:119], v40, v[118:119]
; %bb.1342:                             ;   in Loop: Header=BB0_979 Depth=2
	s_and_not1_saveexec_b32 s7, s7
; %bb.1343:                             ;   in Loop: Header=BB0_979 Depth=2
	s_delay_alu instid0(VALU_DEP_1)
	v_bfe_u32 v30, v118, 23, 1
; %bb.1344:                             ;   in Loop: Header=BB0_979 Depth=2
	s_or_b32 exec_lo, exec_lo, s7
	s_delay_alu instid0(VALU_DEP_2) | instskip(NEXT) | instid1(VALU_DEP_2)
	v_lshrrev_b64 v[118:119], 21, v[118:119]
	v_cmp_gt_i32_e32 vcc_lo, 32, v30
	v_min_i32_e32 v40, 31, v30
	v_cmp_eq_u32_e64 s7, 0, v30
	s_delay_alu instid0(VALU_DEP_2) | instskip(SKIP_1) | instid1(VALU_DEP_2)
	v_dual_cndmask_b32 v119, 0, v119 :: v_dual_lshlrev_b32 v40, 2, v40
	v_cndmask_b32_e32 v118, 3, v118, vcc_lo
	v_and_b32_e32 v40, 0xfc, v40
	s_delay_alu instid0(VALU_DEP_2) | instskip(NEXT) | instid1(VALU_DEP_2)
	v_cmp_eq_u64_e32 vcc_lo, 0, v[118:119]
	v_and_or_b32 v30, v118, 3, v40
	s_and_b32 s7, s7, vcc_lo
	s_delay_alu instid0(VALU_DEP_1) | instid1(SALU_CYCLE_1)
	v_cndmask_b32_e64 v30, v30, 0, s7
	s_delay_alu instid0(VALU_DEP_1)
	v_or_b32_e32 v40, v30, v3
.LBB0_1345:                             ;   in Loop: Header=BB0_979 Depth=2
	s_or_b32 exec_lo, exec_lo, s21
                                        ; implicit-def: $vgpr3
.LBB0_1346:                             ;   in Loop: Header=BB0_979 Depth=2
	s_and_not1_saveexec_b32 s7, s20
; %bb.1347:                             ;   in Loop: Header=BB0_979 Depth=2
	v_or_b32_e32 v40, 0x7b, v3
; %bb.1348:                             ;   in Loop: Header=BB0_979 Depth=2
	s_or_b32 exec_lo, exec_lo, s7
                                        ; implicit-def: $vgpr30
                                        ; implicit-def: $vgpr118_vgpr119
                                        ; implicit-def: $vgpr3
.LBB0_1349:                             ;   in Loop: Header=BB0_979 Depth=2
	s_and_not1_saveexec_b32 s7, s19
	s_cbranch_execz .LBB0_1355
; %bb.1350:                             ;   in Loop: Header=BB0_979 Depth=2
	s_mov_b32 s19, exec_lo
                                        ; implicit-def: $vgpr40
	v_cmpx_ne_u64_e32 0, v[118:119]
	s_xor_b32 s19, exec_lo, s19
; %bb.1351:                             ;   in Loop: Header=BB0_979 Depth=2
	v_or_b32_e32 v40, 0x7f, v3
                                        ; implicit-def: $vgpr30
; %bb.1352:                             ;   in Loop: Header=BB0_979 Depth=2
	s_and_not1_saveexec_b32 s19, s19
; %bb.1353:                             ;   in Loop: Header=BB0_979 Depth=2
	v_cmp_lt_i32_e32 vcc_lo, -1, v30
	v_cndmask_b32_e32 v40, 0xfc, v59, vcc_lo
; %bb.1354:                             ;   in Loop: Header=BB0_979 Depth=2
	s_or_b32 exec_lo, exec_lo, s19
.LBB0_1355:                             ;   in Loop: Header=BB0_979 Depth=2
	s_delay_alu instid0(SALU_CYCLE_1)
	s_or_b32 exec_lo, exec_lo, s7
	v_dual_mov_b32 v3, 0 :: v_dual_mov_b32 v118, 0
	s_mov_b32 s7, exec_lo
	v_cmpx_lt_u32_e32 0xffffff, v2
	s_cbranch_execz .LBB0_1365
; %bb.1356:                             ;   in Loop: Header=BB0_979 Depth=2
	v_lshrrev_b32_e32 v30, 24, v2
	v_bfrev_b32_e32 v118, 1
	s_mov_b32 s19, exec_lo
	s_delay_alu instid0(VALU_DEP_2)
	v_cmpx_ne_u32_e32 0x80, v30
	s_cbranch_execz .LBB0_1364
; %bb.1357:                             ;   in Loop: Header=BB0_979 Depth=2
	v_and_b32_e32 v118, 0x7c000000, v2
	v_bfe_u32 v119, v2, 24, 2
	s_delay_alu instid0(VALU_DEP_2) | instskip(SKIP_1) | instid1(SALU_CYCLE_1)
	v_cmp_ne_u32_e32 vcc_lo, 0x7c000000, v118
                                        ; implicit-def: $vgpr118
	s_and_saveexec_b32 s20, vcc_lo
	s_xor_b32 s20, exec_lo, s20
	s_cbranch_execz .LBB0_1361
; %bb.1358:                             ;   in Loop: Header=BB0_979 Depth=2
	v_bfe_u32 v118, v2, 26, 5
	s_mov_b32 s21, exec_lo
	s_delay_alu instid0(VALU_DEP_1)
	v_cmpx_eq_u32_e32 0, v118
; %bb.1359:                             ;   in Loop: Header=BB0_979 Depth=2
	v_clz_i32_u32_e32 v118, v119
	s_delay_alu instid0(VALU_DEP_1) | instskip(NEXT) | instid1(VALU_DEP_1)
	v_min_u32_e32 v118, 32, v118
	v_subrev_nc_u32_e32 v119, 29, v118
	v_sub_nc_u32_e32 v118, 30, v118
	s_delay_alu instid0(VALU_DEP_2) | instskip(NEXT) | instid1(VALU_DEP_1)
	v_lshlrev_b64_e32 v[62:63], v119, v[30:31]
	v_and_b32_e32 v119, 3, v62
; %bb.1360:                             ;   in Loop: Header=BB0_979 Depth=2
	s_or_b32 exec_lo, exec_lo, s21
	v_and_b32_e32 v2, 0x80000000, v2
	s_delay_alu instid0(VALU_DEP_1) | instskip(NEXT) | instid1(VALU_DEP_1)
	v_lshl_add_u32 v2, v118, 23, v2
	v_lshl_or_b32 v2, v119, 21, v2
                                        ; implicit-def: $vgpr119
	s_delay_alu instid0(VALU_DEP_1)
	v_add_nc_u32_e32 v118, 0x38000000, v2
.LBB0_1361:                             ;   in Loop: Header=BB0_979 Depth=2
	s_and_not1_saveexec_b32 s20, s20
; %bb.1362:                             ;   in Loop: Header=BB0_979 Depth=2
	v_cmp_lt_i32_e32 vcc_lo, -1, v2
	v_cndmask_b32_e32 v2, 0xff800000, v21, vcc_lo
	v_cmp_eq_u32_e32 vcc_lo, 0, v119
	s_delay_alu instid0(VALU_DEP_2)
	v_cndmask_b32_e32 v118, 0x7f800001, v2, vcc_lo
; %bb.1363:                             ;   in Loop: Header=BB0_979 Depth=2
	s_or_b32 exec_lo, exec_lo, s20
.LBB0_1364:                             ;   in Loop: Header=BB0_979 Depth=2
	s_delay_alu instid0(SALU_CYCLE_1)
	s_or_b32 exec_lo, exec_lo, s19
.LBB0_1365:                             ;   in Loop: Header=BB0_979 Depth=2
	s_delay_alu instid0(SALU_CYCLE_1) | instskip(NEXT) | instid1(SALU_CYCLE_1)
	s_or_b32 exec_lo, exec_lo, s7
	s_mov_b32 s7, exec_lo
	v_cmpx_lt_u32_e32 0xffffff, v64
	s_cbranch_execz .LBB0_1375
; %bb.1366:                             ;   in Loop: Header=BB0_979 Depth=2
	v_lshrrev_b32_e32 v2, 24, v64
	v_bfrev_b32_e32 v3, 1
	s_mov_b32 s19, exec_lo
	s_delay_alu instid0(VALU_DEP_2)
	v_cmpx_ne_u32_e32 0x80, v2
	s_cbranch_execz .LBB0_1374
; %bb.1367:                             ;   in Loop: Header=BB0_979 Depth=2
	v_and_b32_e32 v3, 0x7c000000, v64
	v_bfe_u32 v30, v64, 24, 2
	s_delay_alu instid0(VALU_DEP_2) | instskip(SKIP_1) | instid1(SALU_CYCLE_1)
	v_cmp_ne_u32_e32 vcc_lo, 0x7c000000, v3
                                        ; implicit-def: $vgpr3
	s_and_saveexec_b32 s20, vcc_lo
	s_xor_b32 s20, exec_lo, s20
	s_cbranch_execz .LBB0_1371
; %bb.1368:                             ;   in Loop: Header=BB0_979 Depth=2
	v_bfe_u32 v3, v64, 26, 5
	s_mov_b32 s21, exec_lo
	s_delay_alu instid0(VALU_DEP_1)
	v_cmpx_eq_u32_e32 0, v3
; %bb.1369:                             ;   in Loop: Header=BB0_979 Depth=2
	v_clz_i32_u32_e32 v3, v30
	s_delay_alu instid0(VALU_DEP_1) | instskip(NEXT) | instid1(VALU_DEP_1)
	v_min_u32_e32 v30, 32, v3
	v_subrev_nc_u32_e32 v3, 29, v30
	s_delay_alu instid0(VALU_DEP_1) | instskip(SKIP_1) | instid1(VALU_DEP_2)
	v_lshlrev_b64_e32 v[2:3], v3, v[2:3]
	v_sub_nc_u32_e32 v3, 30, v30
	v_and_b32_e32 v30, 3, v2
; %bb.1370:                             ;   in Loop: Header=BB0_979 Depth=2
	s_or_b32 exec_lo, exec_lo, s21
	v_and_b32_e32 v2, 0x80000000, v64
	s_delay_alu instid0(VALU_DEP_1) | instskip(NEXT) | instid1(VALU_DEP_1)
	v_lshl_add_u32 v2, v3, 23, v2
	v_lshl_or_b32 v2, v30, 21, v2
                                        ; implicit-def: $vgpr30
	s_delay_alu instid0(VALU_DEP_1)
	v_add_nc_u32_e32 v3, 0x38000000, v2
.LBB0_1371:                             ;   in Loop: Header=BB0_979 Depth=2
	s_and_not1_saveexec_b32 s20, s20
; %bb.1372:                             ;   in Loop: Header=BB0_979 Depth=2
	v_cmp_lt_i32_e32 vcc_lo, -1, v64
	v_cndmask_b32_e32 v2, 0xff800000, v21, vcc_lo
	v_cmp_eq_u32_e32 vcc_lo, 0, v30
	s_delay_alu instid0(VALU_DEP_2)
	v_cndmask_b32_e32 v3, 0x7f800001, v2, vcc_lo
; %bb.1373:                             ;   in Loop: Header=BB0_979 Depth=2
	s_or_b32 exec_lo, exec_lo, s20
.LBB0_1374:                             ;   in Loop: Header=BB0_979 Depth=2
	s_delay_alu instid0(SALU_CYCLE_1)
	s_or_b32 exec_lo, exec_lo, s19
.LBB0_1375:                             ;   in Loop: Header=BB0_979 Depth=2
	s_delay_alu instid0(SALU_CYCLE_1) | instskip(NEXT) | instid1(VALU_DEP_1)
	s_or_b32 exec_lo, exec_lo, s7
	v_dual_add_f32 v2, v118, v3 :: v_dual_mov_b32 v119, v65
                                        ; implicit-def: $vgpr41
	s_mov_b32 s7, exec_lo
	s_delay_alu instid0(VALU_DEP_1) | instskip(SKIP_2) | instid1(VALU_DEP_3)
	v_and_b32_e32 v118, 0x7f800000, v2
	v_and_b32_e32 v64, 0x7fffff, v2
	v_lshrrev_b32_e32 v3, 24, v2
	v_cmpx_ne_u64_e32 0x7f800000, v[118:119]
	s_xor_b32 s19, exec_lo, s7
	s_cbranch_execz .LBB0_1389
; %bb.1376:                             ;   in Loop: Header=BB0_979 Depth=2
	v_and_b32_e32 v118, 0x7fffffff, v2
	v_mov_b32_e32 v119, v65
	v_and_b32_e32 v30, 0x80, v3
                                        ; implicit-def: $vgpr41
	s_mov_b32 s7, exec_lo
	s_delay_alu instid0(VALU_DEP_2)
	v_cmpx_gt_u64_e32 0x47600001, v[118:119]
	s_xor_b32 s20, exec_lo, s7
	s_cbranch_execz .LBB0_1386
; %bb.1377:                             ;   in Loop: Header=BB0_979 Depth=2
	v_mov_b32_e32 v41, 0
	s_mov_b32 s21, exec_lo
	v_cmpx_ne_u32_e32 0, v2
	s_cbranch_execz .LBB0_1385
; %bb.1378:                             ;   in Loop: Header=BB0_979 Depth=2
	v_bfe_u32 v41, v2, 23, 8
	v_or_b32_e32 v118, 0x800000, v64
	s_delay_alu instid0(VALU_DEP_2) | instskip(SKIP_1) | instid1(VALU_DEP_2)
	v_sub_nc_u32_e32 v2, 0x71, v41
	v_cmp_gt_u32_e32 vcc_lo, 0x72, v41
	v_cndmask_b32_e32 v2, 0, v2, vcc_lo
	v_cmp_eq_u32_e32 vcc_lo, 0, v41
	v_cndmask_b32_e32 v64, v118, v64, vcc_lo
	s_delay_alu instid0(VALU_DEP_3) | instskip(NEXT) | instid1(VALU_DEP_1)
	v_cndmask_b32_e64 v62, v2, 0x70, vcc_lo
	v_dual_add_nc_u32 v2, 21, v62 :: v_dual_add_nc_u32 v119, 20, v62
	s_delay_alu instid0(VALU_DEP_1) | instskip(NEXT) | instid1(VALU_DEP_2)
	v_lshlrev_b64_e64 v[2:3], v2, -1
	v_lshlrev_b64_e64 v[118:119], v119, 1
	s_delay_alu instid0(VALU_DEP_2) | instskip(NEXT) | instid1(VALU_DEP_3)
	v_bfi_b32 v73, v3, 0, 0
	v_bfi_b32 v72, v2, 0, v64
	v_lshrrev_b64 v[2:3], v62, v[64:65]
	s_delay_alu instid0(VALU_DEP_2) | instskip(NEXT) | instid1(VALU_DEP_2)
	v_cmp_eq_u64_e64 s7, v[72:73], v[118:119]
	v_mov_b64_e32 v[118:119], v[2:3]
	s_and_saveexec_b32 s22, s7
; %bb.1379:                             ;   in Loop: Header=BB0_979 Depth=2
	v_bfe_u32 v64, v2, 21, 1
	s_delay_alu instid0(VALU_DEP_1) | instskip(NEXT) | instid1(VALU_DEP_1)
	v_add_nc_u64_e32 v[118:119], v[2:3], v[64:65]
	v_add_nc_u64_e32 v[118:119], -1, v[118:119]
; %bb.1380:                             ;   in Loop: Header=BB0_979 Depth=2
	s_or_b32 exec_lo, exec_lo, s22
	v_add_nc_u32_e32 v3, 0xffffff81, v41
	v_lshrrev_b32_e32 v64, 23, v2
	s_mov_b32 s7, exec_lo
	s_delay_alu instid0(VALU_DEP_2) | instskip(NEXT) | instid1(VALU_DEP_1)
	v_cndmask_b32_e64 v3, v3, 0xffffff82, vcc_lo
	v_add3_u32 v119, v62, v3, v64
	v_and_b32_e32 v3, 0x1fffff, v118
                                        ; implicit-def: $vgpr118
	s_delay_alu instid0(VALU_DEP_1) | instskip(NEXT) | instid1(VALU_DEP_1)
	v_dual_add_nc_u32 v41, 14, v119 :: v_dual_add_nc_u32 v64, v3, v2
                                        ; implicit-def: $vgpr2_vgpr3
	v_cmpx_ne_u32_e32 0, v41
	s_xor_b32 s7, exec_lo, s7
; %bb.1381:                             ;   in Loop: Header=BB0_979 Depth=2
	s_delay_alu instid0(VALU_DEP_2) | instskip(SKIP_1) | instid1(VALU_DEP_1)
	v_cmp_lt_u64_e32 vcc_lo, 0xffffff, v[64:65]
	v_add_nc_u32_e32 v2, 15, v119
	v_cndmask_b32_e32 v118, v41, v2, vcc_lo
	v_cndmask_b32_e64 v2, 0, 1, vcc_lo
	s_delay_alu instid0(VALU_DEP_1)
	v_lshrrev_b64 v[2:3], v2, v[64:65]
; %bb.1382:                             ;   in Loop: Header=BB0_979 Depth=2
	s_and_not1_saveexec_b32 s7, s7
; %bb.1383:                             ;   in Loop: Header=BB0_979 Depth=2
	v_mov_b64_e32 v[2:3], v[64:65]
	v_bfe_u32 v118, v64, 23, 1
; %bb.1384:                             ;   in Loop: Header=BB0_979 Depth=2
	s_or_b32 exec_lo, exec_lo, s7
	s_delay_alu instid0(VALU_DEP_2) | instskip(NEXT) | instid1(VALU_DEP_2)
	v_lshrrev_b64 v[2:3], 21, v[2:3]
	v_cmp_gt_i32_e32 vcc_lo, 32, v118
	v_min_i32_e32 v64, 31, v118
	v_cmp_eq_u32_e64 s7, 0, v118
	s_delay_alu instid0(VALU_DEP_2) | instskip(SKIP_1) | instid1(VALU_DEP_2)
	v_dual_cndmask_b32 v3, 0, v3 :: v_dual_lshlrev_b32 v64, 2, v64
	v_cndmask_b32_e32 v2, 3, v2, vcc_lo
	v_and_b32_e32 v64, 0xfc, v64
	s_delay_alu instid0(VALU_DEP_2) | instskip(NEXT) | instid1(VALU_DEP_2)
	v_cmp_eq_u64_e32 vcc_lo, 0, v[2:3]
	v_and_or_b32 v2, v2, 3, v64
	s_and_b32 s7, s7, vcc_lo
	s_delay_alu instid0(VALU_DEP_1) | instid1(SALU_CYCLE_1)
	v_cndmask_b32_e64 v2, v2, 0, s7
	s_delay_alu instid0(VALU_DEP_1)
	v_or_b32_e32 v41, v2, v30
.LBB0_1385:                             ;   in Loop: Header=BB0_979 Depth=2
	s_or_b32 exec_lo, exec_lo, s21
                                        ; implicit-def: $vgpr30
.LBB0_1386:                             ;   in Loop: Header=BB0_979 Depth=2
	s_and_not1_saveexec_b32 s7, s20
; %bb.1387:                             ;   in Loop: Header=BB0_979 Depth=2
	v_or_b32_e32 v41, 0x7b, v30
; %bb.1388:                             ;   in Loop: Header=BB0_979 Depth=2
	s_or_b32 exec_lo, exec_lo, s7
                                        ; implicit-def: $vgpr2
                                        ; implicit-def: $vgpr3
.LBB0_1389:                             ;   in Loop: Header=BB0_979 Depth=2
	s_and_not1_saveexec_b32 s7, s19
	s_cbranch_execz .LBB0_1395
; %bb.1390:                             ;   in Loop: Header=BB0_979 Depth=2
	s_mov_b32 s19, exec_lo
                                        ; implicit-def: $vgpr41
	v_cmpx_ne_u64_e32 0, v[64:65]
	s_xor_b32 s19, exec_lo, s19
; %bb.1391:                             ;   in Loop: Header=BB0_979 Depth=2
	v_or_b32_e32 v41, 0x7f, v3
                                        ; implicit-def: $vgpr2
; %bb.1392:                             ;   in Loop: Header=BB0_979 Depth=2
	s_and_not1_saveexec_b32 s19, s19
; %bb.1393:                             ;   in Loop: Header=BB0_979 Depth=2
	v_cmp_lt_i32_e32 vcc_lo, -1, v2
	v_cndmask_b32_e32 v41, 0xfc, v59, vcc_lo
; %bb.1394:                             ;   in Loop: Header=BB0_979 Depth=2
	s_or_b32 exec_lo, exec_lo, s19
.LBB0_1395:                             ;   in Loop: Header=BB0_979 Depth=2
	s_delay_alu instid0(SALU_CYCLE_1) | instskip(SKIP_2) | instid1(VALU_DEP_2)
	s_or_b32 exec_lo, exec_lo, s7
	v_and_b32_e32 v3, 0xff, v4
	v_mov_b32_e32 v2, 0
	v_cmp_ne_u16_e32 vcc_lo, 0, v3
	v_mov_b32_e32 v3, 0
	s_and_saveexec_b32 s7, vcc_lo
	s_cbranch_execz .LBB0_1405
; %bb.1396:                             ;   in Loop: Header=BB0_979 Depth=2
	v_bfe_i32 v64, v4, 0, 8
	v_bfrev_b32_e32 v3, 1
	s_mov_b32 s19, exec_lo
	s_delay_alu instid0(VALU_DEP_2)
	v_cmpx_ne_u16_e32 0xff80, v64
	s_cbranch_execz .LBB0_1404
; %bb.1397:                             ;   in Loop: Header=BB0_979 Depth=2
	v_and_b32_e32 v3, 0x7c, v4
	v_and_b32_e32 v30, 3, v4
	s_delay_alu instid0(VALU_DEP_2) | instskip(SKIP_1) | instid1(SALU_CYCLE_1)
	v_cmp_ne_u32_e32 vcc_lo, 0x7c, v3
                                        ; implicit-def: $vgpr3
	s_and_saveexec_b32 s20, vcc_lo
	s_xor_b32 s20, exec_lo, s20
	s_cbranch_execz .LBB0_1401
; %bb.1398:                             ;   in Loop: Header=BB0_979 Depth=2
	v_bfe_u32 v3, v4, 2, 5
	s_mov_b32 s21, exec_lo
	s_delay_alu instid0(VALU_DEP_1)
	v_cmpx_eq_u32_e32 0, v3
; %bb.1399:                             ;   in Loop: Header=BB0_979 Depth=2
	v_clz_i32_u32_e32 v3, v30
	s_delay_alu instid0(VALU_DEP_1) | instskip(NEXT) | instid1(VALU_DEP_1)
	v_min_u32_e32 v3, 32, v3
	v_subrev_nc_u32_e32 v30, 29, v3
	s_delay_alu instid0(VALU_DEP_1) | instskip(NEXT) | instid1(VALU_DEP_1)
	v_lshlrev_b64_e32 v[118:119], v30, v[4:5]
	v_dual_sub_nc_u32 v3, 30, v3 :: v_dual_bitop2_b32 v30, 3, v118 bitop3:0x40
; %bb.1400:                             ;   in Loop: Header=BB0_979 Depth=2
	s_or_b32 exec_lo, exec_lo, s21
	v_lshlrev_b32_e32 v5, 24, v4
                                        ; implicit-def: $vgpr64
	s_delay_alu instid0(VALU_DEP_1) | instskip(NEXT) | instid1(VALU_DEP_1)
	v_and_b32_e32 v5, 0x80000000, v5
	v_lshl_add_u32 v3, v3, 23, v5
	s_delay_alu instid0(VALU_DEP_1) | instskip(NEXT) | instid1(VALU_DEP_1)
	v_lshl_or_b32 v3, v30, 21, v3
                                        ; implicit-def: $vgpr30
	v_add_nc_u32_e32 v3, 0x38000000, v3
.LBB0_1401:                             ;   in Loop: Header=BB0_979 Depth=2
	s_and_not1_saveexec_b32 s20, s20
; %bb.1402:                             ;   in Loop: Header=BB0_979 Depth=2
	v_cmp_lt_i16_e32 vcc_lo, -1, v64
	v_cndmask_b32_e32 v3, 0xff800000, v21, vcc_lo
	v_cmp_eq_u32_e32 vcc_lo, 0, v30
	s_delay_alu instid0(VALU_DEP_2)
	v_cndmask_b32_e32 v3, 0x7f800001, v3, vcc_lo
; %bb.1403:                             ;   in Loop: Header=BB0_979 Depth=2
	s_or_b32 exec_lo, exec_lo, s20
.LBB0_1404:                             ;   in Loop: Header=BB0_979 Depth=2
	s_delay_alu instid0(SALU_CYCLE_1)
	s_or_b32 exec_lo, exec_lo, s19
.LBB0_1405:                             ;   in Loop: Header=BB0_979 Depth=2
	s_delay_alu instid0(SALU_CYCLE_1) | instskip(SKIP_3) | instid1(VALU_DEP_1)
	s_or_b32 exec_lo, exec_lo, s7
	v_dual_lshlrev_b32 v30, 24, v47 :: v_dual_lshlrev_b32 v64, 16, v46
	v_lshl_or_b32 v5, v45, 8, v43
	s_mov_b32 s7, exec_lo
	v_or3_b32 v64, v64, v30, v5
	v_cmpx_ne_u32_e32 0, v43
	s_cbranch_execz .LBB0_1415
; %bb.1406:                             ;   in Loop: Header=BB0_979 Depth=2
	v_bfrev_b32_e32 v2, 1
	s_mov_b32 s19, exec_lo
	v_cmpx_ne_u32_e32 0x80, v43
	s_cbranch_execz .LBB0_1414
; %bb.1407:                             ;   in Loop: Header=BB0_979 Depth=2
	v_and_b32_e32 v2, 0x7c, v43
	v_and_b32_e32 v30, 3, v43
	s_delay_alu instid0(VALU_DEP_2) | instskip(SKIP_1) | instid1(SALU_CYCLE_1)
	v_cmp_ne_u32_e32 vcc_lo, 0x7c, v2
                                        ; implicit-def: $vgpr2
	s_and_saveexec_b32 s20, vcc_lo
	s_xor_b32 s20, exec_lo, s20
	s_cbranch_execz .LBB0_1411
; %bb.1408:                             ;   in Loop: Header=BB0_979 Depth=2
	v_bfe_u32 v2, v43, 2, 5
	s_mov_b32 s21, exec_lo
	s_delay_alu instid0(VALU_DEP_1)
	v_cmpx_eq_u32_e32 0, v2
; %bb.1409:                             ;   in Loop: Header=BB0_979 Depth=2
	v_clz_i32_u32_e32 v2, v30
	s_delay_alu instid0(VALU_DEP_1) | instskip(NEXT) | instid1(VALU_DEP_1)
	v_min_u32_e32 v2, 32, v2
	v_subrev_nc_u32_e32 v30, 29, v2
	v_sub_nc_u32_e32 v2, 30, v2
	s_delay_alu instid0(VALU_DEP_2) | instskip(NEXT) | instid1(VALU_DEP_1)
	v_lshlrev_b64_e32 v[118:119], v30, v[64:65]
	v_and_b32_e32 v30, 3, v118
; %bb.1410:                             ;   in Loop: Header=BB0_979 Depth=2
	s_or_b32 exec_lo, exec_lo, s21
	v_lshlrev_b32_e32 v118, 24, v43
                                        ; implicit-def: $vgpr43
	s_delay_alu instid0(VALU_DEP_1) | instskip(NEXT) | instid1(VALU_DEP_1)
	v_and_b32_e32 v118, 0x80000000, v118
	v_lshl_add_u32 v2, v2, 23, v118
	s_delay_alu instid0(VALU_DEP_1) | instskip(NEXT) | instid1(VALU_DEP_1)
	v_lshl_or_b32 v2, v30, 21, v2
                                        ; implicit-def: $vgpr30
	v_add_nc_u32_e32 v2, 0x38000000, v2
.LBB0_1411:                             ;   in Loop: Header=BB0_979 Depth=2
	s_and_not1_saveexec_b32 s20, s20
; %bb.1412:                             ;   in Loop: Header=BB0_979 Depth=2
	v_and_b32_e32 v2, 0x80, v43
	s_delay_alu instid0(VALU_DEP_1) | instskip(SKIP_2) | instid1(VALU_DEP_2)
	v_cmp_eq_u32_e32 vcc_lo, 0, v2
	v_cndmask_b32_e32 v2, 0xff800000, v21, vcc_lo
	v_cmp_eq_u32_e32 vcc_lo, 0, v30
	v_cndmask_b32_e32 v2, 0x7f800001, v2, vcc_lo
; %bb.1413:                             ;   in Loop: Header=BB0_979 Depth=2
	s_or_b32 exec_lo, exec_lo, s20
.LBB0_1414:                             ;   in Loop: Header=BB0_979 Depth=2
	s_delay_alu instid0(SALU_CYCLE_1)
	s_or_b32 exec_lo, exec_lo, s19
.LBB0_1415:                             ;   in Loop: Header=BB0_979 Depth=2
	s_delay_alu instid0(SALU_CYCLE_1) | instskip(NEXT) | instid1(VALU_DEP_1)
	s_or_b32 exec_lo, exec_lo, s7
	v_dual_add_f32 v118, v3, v2 :: v_dual_mov_b32 v47, v65
	v_mov_b32_e32 v3, v65
                                        ; implicit-def: $vgpr43
	s_mov_b32 s7, exec_lo
	s_delay_alu instid0(VALU_DEP_2) | instskip(SKIP_2) | instid1(VALU_DEP_3)
	v_and_b32_e32 v46, 0x7f800000, v118
	v_and_b32_e32 v2, 0x7fffff, v118
	v_lshrrev_b32_e32 v30, 24, v118
	v_cmpx_ne_u64_e32 0x7f800000, v[46:47]
	s_xor_b32 s19, exec_lo, s7
	s_cbranch_execz .LBB0_1429
; %bb.1416:                             ;   in Loop: Header=BB0_979 Depth=2
	v_and_b32_e32 v46, 0x7fffffff, v118
	v_mov_b32_e32 v47, v65
	v_and_b32_e32 v30, 0x80, v30
                                        ; implicit-def: $vgpr43
	s_mov_b32 s7, exec_lo
	s_delay_alu instid0(VALU_DEP_2)
	v_cmpx_gt_u64_e32 0x47600001, v[46:47]
	s_xor_b32 s20, exec_lo, s7
	s_cbranch_execz .LBB0_1426
; %bb.1417:                             ;   in Loop: Header=BB0_979 Depth=2
	v_mov_b32_e32 v43, 0
	s_mov_b32 s21, exec_lo
	v_cmpx_ne_u32_e32 0, v118
	s_cbranch_execz .LBB0_1425
; %bb.1418:                             ;   in Loop: Header=BB0_979 Depth=2
	v_bfe_u32 v43, v118, 23, 8
	v_or_b32_e32 v46, 0x800000, v2
	s_delay_alu instid0(VALU_DEP_2) | instskip(SKIP_1) | instid1(VALU_DEP_2)
	v_sub_nc_u32_e32 v118, 0x71, v43
	v_cmp_gt_u32_e32 vcc_lo, 0x72, v43
	v_cndmask_b32_e32 v118, 0, v118, vcc_lo
	v_cmp_eq_u32_e32 vcc_lo, 0, v43
	s_delay_alu instid0(VALU_DEP_2) | instskip(NEXT) | instid1(VALU_DEP_1)
	v_cndmask_b32_e64 v45, v118, 0x70, vcc_lo
	v_dual_cndmask_b32 v2, v46, v2, vcc_lo :: v_dual_add_nc_u32 v118, 21, v45
	v_add_nc_u32_e32 v47, 20, v45
	s_delay_alu instid0(VALU_DEP_2) | instskip(NEXT) | instid1(VALU_DEP_2)
	v_lshlrev_b64_e64 v[118:119], v118, -1
	v_lshlrev_b64_e64 v[46:47], v47, 1
	s_delay_alu instid0(VALU_DEP_2) | instskip(SKIP_1) | instid1(VALU_DEP_4)
	v_bfi_b32 v118, v118, 0, v2
	v_lshrrev_b64 v[2:3], v45, v[2:3]
	v_bfi_b32 v119, v119, 0, 0
	s_delay_alu instid0(VALU_DEP_1) | instskip(NEXT) | instid1(VALU_DEP_3)
	v_cmp_eq_u64_e64 s7, v[118:119], v[46:47]
	v_mov_b64_e32 v[118:119], v[2:3]
	s_and_saveexec_b32 s22, s7
; %bb.1419:                             ;   in Loop: Header=BB0_979 Depth=2
	v_bfe_u32 v118, v2, 21, 1
	v_mov_b32_e32 v119, v65
	s_delay_alu instid0(VALU_DEP_1) | instskip(NEXT) | instid1(VALU_DEP_1)
	v_add_nc_u64_e32 v[118:119], v[2:3], v[118:119]
	v_add_nc_u64_e32 v[118:119], -1, v[118:119]
; %bb.1420:                             ;   in Loop: Header=BB0_979 Depth=2
	s_or_b32 exec_lo, exec_lo, s22
	v_add_nc_u32_e32 v3, 0xffffff81, v43
	v_lshrrev_b32_e32 v119, 23, v2
	s_mov_b32 s7, exec_lo
	s_delay_alu instid0(VALU_DEP_2) | instskip(NEXT) | instid1(VALU_DEP_1)
	v_cndmask_b32_e64 v3, v3, 0xffffff82, vcc_lo
	v_add3_u32 v119, v45, v3, v119
	v_and_b32_e32 v3, 0x1fffff, v118
                                        ; implicit-def: $vgpr118
	s_delay_alu instid0(VALU_DEP_1) | instskip(SKIP_1) | instid1(VALU_DEP_2)
	v_dual_add_nc_u32 v43, 14, v119 :: v_dual_add_nc_u32 v2, v3, v2
	v_mov_b32_e32 v3, v65
	v_cmpx_ne_u32_e32 0, v43
	s_xor_b32 s7, exec_lo, s7
; %bb.1421:                             ;   in Loop: Header=BB0_979 Depth=2
	s_delay_alu instid0(VALU_DEP_2) | instskip(SKIP_2) | instid1(VALU_DEP_2)
	v_cmp_lt_u64_e32 vcc_lo, 0xffffff, v[2:3]
	v_add_nc_u32_e32 v118, 15, v119
	v_cndmask_b32_e64 v119, 0, 1, vcc_lo
	v_cndmask_b32_e32 v118, v43, v118, vcc_lo
	s_delay_alu instid0(VALU_DEP_2)
	v_lshrrev_b64 v[2:3], v119, v[2:3]
; %bb.1422:                             ;   in Loop: Header=BB0_979 Depth=2
	s_and_not1_saveexec_b32 s7, s7
; %bb.1423:                             ;   in Loop: Header=BB0_979 Depth=2
	s_delay_alu instid0(VALU_DEP_1)
	v_bfe_u32 v118, v2, 23, 1
; %bb.1424:                             ;   in Loop: Header=BB0_979 Depth=2
	s_or_b32 exec_lo, exec_lo, s7
	s_delay_alu instid0(VALU_DEP_2) | instskip(NEXT) | instid1(VALU_DEP_2)
	v_lshrrev_b64 v[2:3], 21, v[2:3]
	v_cmp_gt_i32_e32 vcc_lo, 32, v118
	v_min_i32_e32 v119, 31, v118
	v_cmp_eq_u32_e64 s7, 0, v118
	s_delay_alu instid0(VALU_DEP_4) | instskip(NEXT) | instid1(VALU_DEP_3)
	v_cndmask_b32_e32 v3, 0, v3, vcc_lo
	v_dual_cndmask_b32 v2, 3, v2 :: v_dual_lshlrev_b32 v119, 2, v119
	s_delay_alu instid0(VALU_DEP_1) | instskip(NEXT) | instid1(VALU_DEP_2)
	v_and_b32_e32 v119, 0xfc, v119
	v_cmp_eq_u64_e32 vcc_lo, 0, v[2:3]
	s_delay_alu instid0(VALU_DEP_2)
	v_and_or_b32 v2, v2, 3, v119
	s_and_b32 s7, s7, vcc_lo
	s_delay_alu instid0(VALU_DEP_1) | instid1(SALU_CYCLE_1)
	v_cndmask_b32_e64 v2, v2, 0, s7
	s_delay_alu instid0(VALU_DEP_1)
	v_or_b32_e32 v43, v2, v30
.LBB0_1425:                             ;   in Loop: Header=BB0_979 Depth=2
	s_or_b32 exec_lo, exec_lo, s21
                                        ; implicit-def: $vgpr30
.LBB0_1426:                             ;   in Loop: Header=BB0_979 Depth=2
	s_and_not1_saveexec_b32 s7, s20
; %bb.1427:                             ;   in Loop: Header=BB0_979 Depth=2
	v_or_b32_e32 v43, 0x7b, v30
; %bb.1428:                             ;   in Loop: Header=BB0_979 Depth=2
	s_or_b32 exec_lo, exec_lo, s7
                                        ; implicit-def: $vgpr118
                                        ; implicit-def: $vgpr2_vgpr3
                                        ; implicit-def: $vgpr30
.LBB0_1429:                             ;   in Loop: Header=BB0_979 Depth=2
	s_and_not1_saveexec_b32 s7, s19
	s_cbranch_execz .LBB0_1435
; %bb.1430:                             ;   in Loop: Header=BB0_979 Depth=2
	s_mov_b32 s19, exec_lo
                                        ; implicit-def: $vgpr43
	v_cmpx_ne_u64_e32 0, v[2:3]
	s_xor_b32 s19, exec_lo, s19
; %bb.1431:                             ;   in Loop: Header=BB0_979 Depth=2
	v_or_b32_e32 v43, 0x7f, v30
                                        ; implicit-def: $vgpr118
; %bb.1432:                             ;   in Loop: Header=BB0_979 Depth=2
	s_and_not1_saveexec_b32 s19, s19
; %bb.1433:                             ;   in Loop: Header=BB0_979 Depth=2
	v_cmp_lt_i32_e32 vcc_lo, -1, v118
	v_cndmask_b32_e32 v43, 0xfc, v59, vcc_lo
; %bb.1434:                             ;   in Loop: Header=BB0_979 Depth=2
	s_or_b32 exec_lo, exec_lo, s19
.LBB0_1435:                             ;   in Loop: Header=BB0_979 Depth=2
	s_delay_alu instid0(SALU_CYCLE_1) | instskip(SKIP_3) | instid1(VALU_DEP_2)
	s_or_b32 exec_lo, exec_lo, s7
	v_lshrrev_b16 v2, 8, v4
	v_dual_mov_b32 v30, 0 :: v_dual_mov_b32 v118, 0
	s_mov_b32 s7, exec_lo
	v_cmpx_ne_u16_e32 0, v2
	s_cbranch_execz .LBB0_1445
; %bb.1436:                             ;   in Loop: Header=BB0_979 Depth=2
	v_bfrev_b32_e32 v118, 1
	s_mov_b32 s19, exec_lo
	v_cmpx_ne_u16_e32 0x80, v2
	s_cbranch_execz .LBB0_1444
; %bb.1437:                             ;   in Loop: Header=BB0_979 Depth=2
	v_and_b32_e32 v119, 0xffff, v2
	s_delay_alu instid0(VALU_DEP_1) | instskip(SKIP_1) | instid1(VALU_DEP_2)
	v_and_b32_e32 v118, 0x7c, v119
	v_and_b32_e32 v3, 3, v119
	v_cmp_ne_u32_e32 vcc_lo, 0x7c, v118
                                        ; implicit-def: $vgpr118
	s_and_saveexec_b32 s20, vcc_lo
	s_delay_alu instid0(SALU_CYCLE_1)
	s_xor_b32 s20, exec_lo, s20
	s_cbranch_execz .LBB0_1441
; %bb.1438:                             ;   in Loop: Header=BB0_979 Depth=2
	v_bfe_u32 v118, v119, 2, 5
	s_mov_b32 s21, exec_lo
	s_delay_alu instid0(VALU_DEP_1)
	v_cmpx_eq_u32_e32 0, v118
	s_cbranch_execz .LBB0_1440
; %bb.1439:                             ;   in Loop: Header=BB0_979 Depth=2
	v_clz_i32_u32_e32 v3, v3
	s_delay_alu instid0(VALU_DEP_1) | instskip(SKIP_1) | instid1(VALU_DEP_2)
	v_min_u32_e32 v118, 32, v3
	v_mov_b32_e32 v3, v65
	v_subrev_nc_u32_e32 v119, 29, v118
	v_sub_nc_u32_e32 v118, 30, v118
	s_delay_alu instid0(VALU_DEP_2) | instskip(NEXT) | instid1(VALU_DEP_1)
	v_lshlrev_b64_e32 v[2:3], v119, v[2:3]
	v_and_b32_e32 v3, 3, v2
.LBB0_1440:                             ;   in Loop: Header=BB0_979 Depth=2
	s_or_b32 exec_lo, exec_lo, s21
	v_lshlrev_b32_e32 v2, 16, v4
	s_delay_alu instid0(VALU_DEP_1) | instskip(NEXT) | instid1(VALU_DEP_1)
	v_and_b32_e32 v2, 0x80000000, v2
	v_lshl_add_u32 v2, v118, 23, v2
	s_delay_alu instid0(VALU_DEP_1) | instskip(NEXT) | instid1(VALU_DEP_1)
	v_lshl_or_b32 v2, v3, 21, v2
                                        ; implicit-def: $vgpr3
	v_add_nc_u32_e32 v118, 0x38000000, v2
.LBB0_1441:                             ;   in Loop: Header=BB0_979 Depth=2
	s_and_not1_saveexec_b32 s20, s20
; %bb.1442:                             ;   in Loop: Header=BB0_979 Depth=2
	v_cmp_lt_i16_e32 vcc_lo, -1, v4
	v_cndmask_b32_e32 v2, 0xff800000, v21, vcc_lo
	v_cmp_eq_u32_e32 vcc_lo, 0, v3
	s_delay_alu instid0(VALU_DEP_2)
	v_cndmask_b32_e32 v118, 0x7f800001, v2, vcc_lo
; %bb.1443:                             ;   in Loop: Header=BB0_979 Depth=2
	s_or_b32 exec_lo, exec_lo, s20
.LBB0_1444:                             ;   in Loop: Header=BB0_979 Depth=2
	s_delay_alu instid0(SALU_CYCLE_1)
	s_or_b32 exec_lo, exec_lo, s19
.LBB0_1445:                             ;   in Loop: Header=BB0_979 Depth=2
	s_delay_alu instid0(SALU_CYCLE_1) | instskip(SKIP_2) | instid1(VALU_DEP_1)
	s_or_b32 exec_lo, exec_lo, s7
	v_lshrrev_b16 v2, 8, v5
	s_mov_b32 s7, exec_lo
	v_cmpx_ne_u16_e32 0, v2
	s_cbranch_execz .LBB0_1455
; %bb.1446:                             ;   in Loop: Header=BB0_979 Depth=2
	v_bfrev_b32_e32 v30, 1
	s_mov_b32 s19, exec_lo
	v_cmpx_ne_u16_e32 0x80, v2
	s_cbranch_execz .LBB0_1454
; %bb.1447:                             ;   in Loop: Header=BB0_979 Depth=2
	v_and_b32_e32 v119, 0xffff, v2
	s_delay_alu instid0(VALU_DEP_1) | instskip(SKIP_1) | instid1(VALU_DEP_2)
	v_and_b32_e32 v30, 0x7c, v119
	v_and_b32_e32 v3, 3, v119
	v_cmp_ne_u32_e32 vcc_lo, 0x7c, v30
                                        ; implicit-def: $vgpr30
	s_and_saveexec_b32 s20, vcc_lo
	s_delay_alu instid0(SALU_CYCLE_1)
	s_xor_b32 s20, exec_lo, s20
	s_cbranch_execz .LBB0_1451
; %bb.1448:                             ;   in Loop: Header=BB0_979 Depth=2
	v_bfe_u32 v30, v119, 2, 5
	s_mov_b32 s21, exec_lo
	s_delay_alu instid0(VALU_DEP_1)
	v_cmpx_eq_u32_e32 0, v30
	s_cbranch_execz .LBB0_1450
; %bb.1449:                             ;   in Loop: Header=BB0_979 Depth=2
	v_clz_i32_u32_e32 v3, v3
	s_delay_alu instid0(VALU_DEP_1) | instskip(SKIP_1) | instid1(VALU_DEP_2)
	v_min_u32_e32 v30, 32, v3
	v_mov_b32_e32 v3, v65
	v_subrev_nc_u32_e32 v119, 29, v30
	v_sub_nc_u32_e32 v30, 30, v30
	s_delay_alu instid0(VALU_DEP_2) | instskip(NEXT) | instid1(VALU_DEP_1)
	v_lshlrev_b64_e32 v[2:3], v119, v[2:3]
	v_and_b32_e32 v3, 3, v2
.LBB0_1450:                             ;   in Loop: Header=BB0_979 Depth=2
	s_or_b32 exec_lo, exec_lo, s21
	v_lshlrev_b32_e32 v2, 16, v5
                                        ; implicit-def: $vgpr5
	s_delay_alu instid0(VALU_DEP_1) | instskip(NEXT) | instid1(VALU_DEP_1)
	v_and_b32_e32 v2, 0x80000000, v2
	v_lshl_add_u32 v2, v30, 23, v2
	s_delay_alu instid0(VALU_DEP_1) | instskip(NEXT) | instid1(VALU_DEP_1)
	v_lshl_or_b32 v2, v3, 21, v2
                                        ; implicit-def: $vgpr3
	v_add_nc_u32_e32 v30, 0x38000000, v2
.LBB0_1451:                             ;   in Loop: Header=BB0_979 Depth=2
	s_and_not1_saveexec_b32 s20, s20
; %bb.1452:                             ;   in Loop: Header=BB0_979 Depth=2
	v_cmp_lt_i16_e32 vcc_lo, -1, v5
	v_cndmask_b32_e32 v2, 0xff800000, v21, vcc_lo
	v_cmp_eq_u32_e32 vcc_lo, 0, v3
	s_delay_alu instid0(VALU_DEP_2)
	v_cndmask_b32_e32 v30, 0x7f800001, v2, vcc_lo
; %bb.1453:                             ;   in Loop: Header=BB0_979 Depth=2
	s_or_b32 exec_lo, exec_lo, s20
.LBB0_1454:                             ;   in Loop: Header=BB0_979 Depth=2
	s_delay_alu instid0(SALU_CYCLE_1)
	s_or_b32 exec_lo, exec_lo, s19
.LBB0_1455:                             ;   in Loop: Header=BB0_979 Depth=2
	s_delay_alu instid0(SALU_CYCLE_1) | instskip(NEXT) | instid1(VALU_DEP_1)
	s_or_b32 exec_lo, exec_lo, s7
	v_dual_add_f32 v30, v118, v30 :: v_dual_mov_b32 v119, v65
	v_mov_b32_e32 v3, v65
                                        ; implicit-def: $vgpr45
	s_mov_b32 s7, exec_lo
	s_delay_alu instid0(VALU_DEP_2) | instskip(SKIP_2) | instid1(VALU_DEP_3)
	v_and_b32_e32 v118, 0x7f800000, v30
	v_and_b32_e32 v2, 0x7fffff, v30
	v_lshrrev_b32_e32 v5, 24, v30
	v_cmpx_ne_u64_e32 0x7f800000, v[118:119]
	s_xor_b32 s19, exec_lo, s7
	s_cbranch_execz .LBB0_1469
; %bb.1456:                             ;   in Loop: Header=BB0_979 Depth=2
	v_and_b32_e32 v118, 0x7fffffff, v30
	v_mov_b32_e32 v119, v65
	v_and_b32_e32 v5, 0x80, v5
                                        ; implicit-def: $vgpr45
	s_mov_b32 s7, exec_lo
	s_delay_alu instid0(VALU_DEP_2)
	v_cmpx_gt_u64_e32 0x47600001, v[118:119]
	s_xor_b32 s20, exec_lo, s7
	s_cbranch_execz .LBB0_1466
; %bb.1457:                             ;   in Loop: Header=BB0_979 Depth=2
	v_mov_b32_e32 v45, 0
	s_mov_b32 s21, exec_lo
	v_cmpx_ne_u32_e32 0, v30
	s_cbranch_execz .LBB0_1465
; %bb.1458:                             ;   in Loop: Header=BB0_979 Depth=2
	v_bfe_u32 v30, v30, 23, 8
	v_or_b32_e32 v46, 0x800000, v2
	s_delay_alu instid0(VALU_DEP_2) | instskip(SKIP_1) | instid1(VALU_DEP_2)
	v_sub_nc_u32_e32 v118, 0x71, v30
	v_cmp_gt_u32_e32 vcc_lo, 0x72, v30
	v_cndmask_b32_e32 v118, 0, v118, vcc_lo
	v_cmp_eq_u32_e32 vcc_lo, 0, v30
	s_delay_alu instid0(VALU_DEP_2) | instskip(NEXT) | instid1(VALU_DEP_1)
	v_cndmask_b32_e64 v45, v118, 0x70, vcc_lo
	v_dual_cndmask_b32 v2, v46, v2, vcc_lo :: v_dual_add_nc_u32 v118, 21, v45
	v_add_nc_u32_e32 v47, 20, v45
	s_delay_alu instid0(VALU_DEP_2) | instskip(NEXT) | instid1(VALU_DEP_2)
	v_lshlrev_b64_e64 v[118:119], v118, -1
	v_lshlrev_b64_e64 v[46:47], v47, 1
	s_delay_alu instid0(VALU_DEP_2) | instskip(SKIP_1) | instid1(VALU_DEP_4)
	v_bfi_b32 v118, v118, 0, v2
	v_lshrrev_b64 v[2:3], v45, v[2:3]
	v_bfi_b32 v119, v119, 0, 0
	s_delay_alu instid0(VALU_DEP_1) | instskip(NEXT) | instid1(VALU_DEP_3)
	v_cmp_eq_u64_e64 s7, v[118:119], v[46:47]
	v_mov_b64_e32 v[118:119], v[2:3]
	s_and_saveexec_b32 s22, s7
; %bb.1459:                             ;   in Loop: Header=BB0_979 Depth=2
	v_bfe_u32 v118, v2, 21, 1
	v_mov_b32_e32 v119, v65
	s_delay_alu instid0(VALU_DEP_1) | instskip(NEXT) | instid1(VALU_DEP_1)
	v_add_nc_u64_e32 v[118:119], v[2:3], v[118:119]
	v_add_nc_u64_e32 v[118:119], -1, v[118:119]
; %bb.1460:                             ;   in Loop: Header=BB0_979 Depth=2
	s_or_b32 exec_lo, exec_lo, s22
	v_add_nc_u32_e32 v3, 0xffffff81, v30
	v_lshrrev_b32_e32 v30, 23, v2
	s_mov_b32 s7, exec_lo
	s_delay_alu instid0(VALU_DEP_2) | instskip(NEXT) | instid1(VALU_DEP_1)
	v_cndmask_b32_e64 v3, v3, 0xffffff82, vcc_lo
	v_add3_u32 v119, v45, v3, v30
	v_and_b32_e32 v3, 0x1fffff, v118
                                        ; implicit-def: $vgpr30
	s_delay_alu instid0(VALU_DEP_1) | instskip(SKIP_1) | instid1(VALU_DEP_2)
	v_dual_add_nc_u32 v118, 14, v119 :: v_dual_add_nc_u32 v2, v3, v2
	v_mov_b32_e32 v3, v65
	v_cmpx_ne_u32_e32 0, v118
	s_xor_b32 s7, exec_lo, s7
; %bb.1461:                             ;   in Loop: Header=BB0_979 Depth=2
	s_delay_alu instid0(VALU_DEP_2) | instskip(SKIP_1) | instid1(VALU_DEP_1)
	v_cmp_lt_u64_e32 vcc_lo, 0xffffff, v[2:3]
	v_add_nc_u32_e32 v30, 15, v119
	v_cndmask_b32_e32 v30, v118, v30, vcc_lo
	v_cndmask_b32_e64 v118, 0, 1, vcc_lo
	s_delay_alu instid0(VALU_DEP_1)
	v_lshrrev_b64 v[2:3], v118, v[2:3]
; %bb.1462:                             ;   in Loop: Header=BB0_979 Depth=2
	s_and_not1_saveexec_b32 s7, s7
; %bb.1463:                             ;   in Loop: Header=BB0_979 Depth=2
	s_delay_alu instid0(VALU_DEP_1)
	v_bfe_u32 v30, v2, 23, 1
; %bb.1464:                             ;   in Loop: Header=BB0_979 Depth=2
	s_or_b32 exec_lo, exec_lo, s7
	s_delay_alu instid0(VALU_DEP_2) | instskip(NEXT) | instid1(VALU_DEP_2)
	v_lshrrev_b64 v[2:3], 21, v[2:3]
	v_cmp_gt_i32_e32 vcc_lo, 32, v30
	v_min_i32_e32 v118, 31, v30
	v_cmp_eq_u32_e64 s7, 0, v30
	s_delay_alu instid0(VALU_DEP_2) | instskip(SKIP_1) | instid1(VALU_DEP_2)
	v_dual_cndmask_b32 v3, 0, v3 :: v_dual_lshlrev_b32 v118, 2, v118
	v_cndmask_b32_e32 v2, 3, v2, vcc_lo
	v_and_b32_e32 v118, 0xfc, v118
	s_delay_alu instid0(VALU_DEP_2) | instskip(NEXT) | instid1(VALU_DEP_2)
	v_cmp_eq_u64_e32 vcc_lo, 0, v[2:3]
	v_and_or_b32 v2, v2, 3, v118
	s_and_b32 s7, s7, vcc_lo
	s_delay_alu instid0(VALU_DEP_1) | instid1(SALU_CYCLE_1)
	v_cndmask_b32_e64 v2, v2, 0, s7
	s_delay_alu instid0(VALU_DEP_1)
	v_or_b32_e32 v45, v2, v5
.LBB0_1465:                             ;   in Loop: Header=BB0_979 Depth=2
	s_or_b32 exec_lo, exec_lo, s21
                                        ; implicit-def: $vgpr5
.LBB0_1466:                             ;   in Loop: Header=BB0_979 Depth=2
	s_and_not1_saveexec_b32 s7, s20
; %bb.1467:                             ;   in Loop: Header=BB0_979 Depth=2
	v_or_b32_e32 v45, 0x7b, v5
; %bb.1468:                             ;   in Loop: Header=BB0_979 Depth=2
	s_or_b32 exec_lo, exec_lo, s7
                                        ; implicit-def: $vgpr30
                                        ; implicit-def: $vgpr2_vgpr3
                                        ; implicit-def: $vgpr5
.LBB0_1469:                             ;   in Loop: Header=BB0_979 Depth=2
	s_and_not1_saveexec_b32 s7, s19
	s_cbranch_execz .LBB0_1475
; %bb.1470:                             ;   in Loop: Header=BB0_979 Depth=2
	s_mov_b32 s19, exec_lo
                                        ; implicit-def: $vgpr45
	v_cmpx_ne_u64_e32 0, v[2:3]
	s_xor_b32 s19, exec_lo, s19
; %bb.1471:                             ;   in Loop: Header=BB0_979 Depth=2
	v_or_b32_e32 v45, 0x7f, v5
                                        ; implicit-def: $vgpr30
; %bb.1472:                             ;   in Loop: Header=BB0_979 Depth=2
	s_and_not1_saveexec_b32 s19, s19
; %bb.1473:                             ;   in Loop: Header=BB0_979 Depth=2
	v_cmp_lt_i32_e32 vcc_lo, -1, v30
	v_cndmask_b32_e32 v45, 0xfc, v59, vcc_lo
; %bb.1474:                             ;   in Loop: Header=BB0_979 Depth=2
	s_or_b32 exec_lo, exec_lo, s19
.LBB0_1475:                             ;   in Loop: Header=BB0_979 Depth=2
	s_delay_alu instid0(SALU_CYCLE_1) | instskip(SKIP_3) | instid1(VALU_DEP_2)
	s_or_b32 exec_lo, exec_lo, s7
	v_dual_mov_b32 v3, 0 :: v_dual_lshrrev_b32 v2, 16, v4
	v_mov_b32_e32 v5, 0
	s_mov_b32 s7, exec_lo
	v_and_b32_e32 v30, 0xff, v2
	s_delay_alu instid0(VALU_DEP_1)
	v_cmpx_ne_u16_e32 0, v30
	s_cbranch_execz .LBB0_1485
; %bb.1476:                             ;   in Loop: Header=BB0_979 Depth=2
	v_bfrev_b32_e32 v5, 1
	s_mov_b32 s19, exec_lo
	v_cmpx_ne_u16_e32 0x80, v30
	s_cbranch_execz .LBB0_1484
; %bb.1477:                             ;   in Loop: Header=BB0_979 Depth=2
	v_and_b32_e32 v5, 0x7c0000, v4
	v_bfe_u32 v30, v4, 16, 2
	s_delay_alu instid0(VALU_DEP_2) | instskip(SKIP_1) | instid1(SALU_CYCLE_1)
	v_cmp_ne_u32_e32 vcc_lo, 0x7c0000, v5
                                        ; implicit-def: $vgpr5
	s_and_saveexec_b32 s20, vcc_lo
	s_xor_b32 s20, exec_lo, s20
	s_cbranch_execz .LBB0_1481
; %bb.1478:                             ;   in Loop: Header=BB0_979 Depth=2
	v_bfe_u32 v5, v4, 18, 5
	s_mov_b32 s21, exec_lo
	s_delay_alu instid0(VALU_DEP_1)
	v_cmpx_eq_u32_e32 0, v5
; %bb.1479:                             ;   in Loop: Header=BB0_979 Depth=2
	v_clz_i32_u32_e32 v5, v30
	s_delay_alu instid0(VALU_DEP_1) | instskip(NEXT) | instid1(VALU_DEP_1)
	v_min_u32_e32 v5, 32, v5
	v_subrev_nc_u32_e32 v30, 29, v5
	s_delay_alu instid0(VALU_DEP_1) | instskip(NEXT) | instid1(VALU_DEP_1)
	v_lshlrev_b64_e32 v[118:119], v30, v[2:3]
	v_dual_sub_nc_u32 v5, 30, v5 :: v_dual_bitop2_b32 v30, 3, v118 bitop3:0x40
; %bb.1480:                             ;   in Loop: Header=BB0_979 Depth=2
	s_or_b32 exec_lo, exec_lo, s21
	v_lshlrev_b32_e32 v2, 24, v2
	s_delay_alu instid0(VALU_DEP_1) | instskip(NEXT) | instid1(VALU_DEP_1)
	v_and_b32_e32 v2, 0x80000000, v2
	v_lshl_add_u32 v2, v5, 23, v2
	s_delay_alu instid0(VALU_DEP_1) | instskip(NEXT) | instid1(VALU_DEP_1)
	v_lshl_or_b32 v2, v30, 21, v2
                                        ; implicit-def: $vgpr30
	v_add_nc_u32_e32 v5, 0x38000000, v2
                                        ; implicit-def: $vgpr2
.LBB0_1481:                             ;   in Loop: Header=BB0_979 Depth=2
	s_and_not1_saveexec_b32 s20, s20
; %bb.1482:                             ;   in Loop: Header=BB0_979 Depth=2
	v_bfe_i32 v2, v2, 0, 8
	s_delay_alu instid0(VALU_DEP_1) | instskip(SKIP_2) | instid1(VALU_DEP_2)
	v_cmp_lt_i16_e32 vcc_lo, -1, v2
	v_cndmask_b32_e32 v2, 0xff800000, v21, vcc_lo
	v_cmp_eq_u32_e32 vcc_lo, 0, v30
	v_cndmask_b32_e32 v5, 0x7f800001, v2, vcc_lo
; %bb.1483:                             ;   in Loop: Header=BB0_979 Depth=2
	s_or_b32 exec_lo, exec_lo, s20
.LBB0_1484:                             ;   in Loop: Header=BB0_979 Depth=2
	s_delay_alu instid0(SALU_CYCLE_1)
	s_or_b32 exec_lo, exec_lo, s19
.LBB0_1485:                             ;   in Loop: Header=BB0_979 Depth=2
	s_delay_alu instid0(SALU_CYCLE_1) | instskip(SKIP_2) | instid1(VALU_DEP_1)
	s_or_b32 exec_lo, exec_lo, s7
	v_lshrrev_b32_e32 v2, 16, v64
	s_mov_b32 s7, exec_lo
	v_and_b32_e32 v30, 0xff, v2
	s_delay_alu instid0(VALU_DEP_1)
	v_cmpx_ne_u16_e32 0, v30
	s_cbranch_execz .LBB0_1495
; %bb.1486:                             ;   in Loop: Header=BB0_979 Depth=2
	v_bfrev_b32_e32 v3, 1
	s_mov_b32 s19, exec_lo
	v_cmpx_ne_u16_e32 0x80, v30
	s_cbranch_execz .LBB0_1494
; %bb.1487:                             ;   in Loop: Header=BB0_979 Depth=2
	v_and_b32_e32 v3, 0x7c0000, v64
	v_bfe_u32 v30, v64, 16, 2
	s_delay_alu instid0(VALU_DEP_2) | instskip(SKIP_1) | instid1(SALU_CYCLE_1)
	v_cmp_ne_u32_e32 vcc_lo, 0x7c0000, v3
                                        ; implicit-def: $vgpr3
	s_and_saveexec_b32 s20, vcc_lo
	s_xor_b32 s20, exec_lo, s20
	s_cbranch_execz .LBB0_1491
; %bb.1488:                             ;   in Loop: Header=BB0_979 Depth=2
	v_bfe_u32 v3, v64, 18, 5
	s_mov_b32 s21, exec_lo
	s_delay_alu instid0(VALU_DEP_1)
	v_cmpx_eq_u32_e32 0, v3
; %bb.1489:                             ;   in Loop: Header=BB0_979 Depth=2
	v_clz_i32_u32_e32 v3, v30
	s_delay_alu instid0(VALU_DEP_1) | instskip(NEXT) | instid1(VALU_DEP_1)
	v_min_u32_e32 v3, 32, v3
	v_subrev_nc_u32_e32 v30, 29, v3
	s_delay_alu instid0(VALU_DEP_1) | instskip(NEXT) | instid1(VALU_DEP_1)
	v_lshlrev_b64_e32 v[118:119], v30, v[2:3]
	v_dual_sub_nc_u32 v3, 30, v3 :: v_dual_bitop2_b32 v30, 3, v118 bitop3:0x40
; %bb.1490:                             ;   in Loop: Header=BB0_979 Depth=2
	s_or_b32 exec_lo, exec_lo, s21
	v_lshlrev_b32_e32 v2, 24, v2
	s_delay_alu instid0(VALU_DEP_1) | instskip(NEXT) | instid1(VALU_DEP_1)
	v_and_b32_e32 v2, 0x80000000, v2
	v_lshl_add_u32 v2, v3, 23, v2
	s_delay_alu instid0(VALU_DEP_1) | instskip(NEXT) | instid1(VALU_DEP_1)
	v_lshl_or_b32 v2, v30, 21, v2
                                        ; implicit-def: $vgpr30
	v_add_nc_u32_e32 v3, 0x38000000, v2
                                        ; implicit-def: $vgpr2
.LBB0_1491:                             ;   in Loop: Header=BB0_979 Depth=2
	s_and_not1_saveexec_b32 s20, s20
; %bb.1492:                             ;   in Loop: Header=BB0_979 Depth=2
	v_bfe_i32 v2, v2, 0, 8
	s_delay_alu instid0(VALU_DEP_1) | instskip(SKIP_2) | instid1(VALU_DEP_2)
	v_cmp_lt_i16_e32 vcc_lo, -1, v2
	v_cndmask_b32_e32 v2, 0xff800000, v21, vcc_lo
	v_cmp_eq_u32_e32 vcc_lo, 0, v30
	v_cndmask_b32_e32 v3, 0x7f800001, v2, vcc_lo
; %bb.1493:                             ;   in Loop: Header=BB0_979 Depth=2
	s_or_b32 exec_lo, exec_lo, s20
.LBB0_1494:                             ;   in Loop: Header=BB0_979 Depth=2
	s_delay_alu instid0(SALU_CYCLE_1)
	s_or_b32 exec_lo, exec_lo, s19
.LBB0_1495:                             ;   in Loop: Header=BB0_979 Depth=2
	s_delay_alu instid0(SALU_CYCLE_1) | instskip(NEXT) | instid1(VALU_DEP_1)
	s_or_b32 exec_lo, exec_lo, s7
	v_add_f32_e32 v30, v5, v3
	v_dual_mov_b32 v119, v65 :: v_dual_mov_b32 v3, v65
	s_delay_alu instid0(VALU_DEP_2) | instskip(SKIP_2) | instid1(VALU_DEP_3)
	v_and_b32_e32 v118, 0x7f800000, v30
	v_and_b32_e32 v2, 0x7fffff, v30
	v_lshrrev_b32_e32 v5, 24, v30
	v_cmp_ne_u64_e32 vcc_lo, 0x7f800000, v[118:119]
                                        ; implicit-def: $vgpr118
	s_and_saveexec_b32 s7, vcc_lo
	s_delay_alu instid0(SALU_CYCLE_1)
	s_xor_b32 s19, exec_lo, s7
	s_cbranch_execz .LBB0_1509
; %bb.1496:                             ;   in Loop: Header=BB0_979 Depth=2
	v_and_b32_e32 v118, 0x7fffffff, v30
	v_mov_b32_e32 v119, v65
	v_and_b32_e32 v5, 0x80, v5
	s_delay_alu instid0(VALU_DEP_2) | instskip(SKIP_1) | instid1(SALU_CYCLE_1)
	v_cmp_gt_u64_e32 vcc_lo, 0x47600001, v[118:119]
                                        ; implicit-def: $vgpr118
	s_and_saveexec_b32 s7, vcc_lo
	s_xor_b32 s20, exec_lo, s7
	s_cbranch_execz .LBB0_1506
; %bb.1497:                             ;   in Loop: Header=BB0_979 Depth=2
	v_mov_b32_e32 v118, 0
	s_mov_b32 s21, exec_lo
	v_cmpx_ne_u32_e32 0, v30
	s_cbranch_execz .LBB0_1505
; %bb.1498:                             ;   in Loop: Header=BB0_979 Depth=2
	v_bfe_u32 v30, v30, 23, 8
	v_or_b32_e32 v47, 0x800000, v2
	s_delay_alu instid0(VALU_DEP_2) | instskip(SKIP_1) | instid1(VALU_DEP_2)
	v_sub_nc_u32_e32 v118, 0x71, v30
	v_cmp_gt_u32_e32 vcc_lo, 0x72, v30
	v_cndmask_b32_e32 v118, 0, v118, vcc_lo
	v_cmp_eq_u32_e32 vcc_lo, 0, v30
	s_delay_alu instid0(VALU_DEP_2) | instskip(SKIP_1) | instid1(VALU_DEP_2)
	v_cndmask_b32_e64 v46, v118, 0x70, vcc_lo
	v_cndmask_b32_e32 v2, v47, v2, vcc_lo
	v_dual_add_nc_u32 v118, 21, v46 :: v_dual_add_nc_u32 v62, 20, v46
	s_delay_alu instid0(VALU_DEP_1) | instskip(NEXT) | instid1(VALU_DEP_2)
	v_lshlrev_b64_e64 v[118:119], v118, -1
	v_lshlrev_b64_e64 v[62:63], v62, 1
	s_delay_alu instid0(VALU_DEP_2) | instskip(SKIP_1) | instid1(VALU_DEP_4)
	v_bfi_b32 v118, v118, 0, v2
	v_lshrrev_b64 v[2:3], v46, v[2:3]
	v_bfi_b32 v119, v119, 0, 0
	s_delay_alu instid0(VALU_DEP_1) | instskip(NEXT) | instid1(VALU_DEP_3)
	v_cmp_eq_u64_e64 s7, v[118:119], v[62:63]
	v_mov_b64_e32 v[118:119], v[2:3]
	s_and_saveexec_b32 s22, s7
; %bb.1499:                             ;   in Loop: Header=BB0_979 Depth=2
	v_bfe_u32 v118, v2, 21, 1
	v_mov_b32_e32 v119, v65
	s_delay_alu instid0(VALU_DEP_1) | instskip(NEXT) | instid1(VALU_DEP_1)
	v_add_nc_u64_e32 v[118:119], v[2:3], v[118:119]
	v_add_nc_u64_e32 v[118:119], -1, v[118:119]
; %bb.1500:                             ;   in Loop: Header=BB0_979 Depth=2
	s_or_b32 exec_lo, exec_lo, s22
	v_add_nc_u32_e32 v3, 0xffffff81, v30
	v_lshrrev_b32_e32 v30, 23, v2
	s_mov_b32 s7, exec_lo
	s_delay_alu instid0(VALU_DEP_2) | instskip(NEXT) | instid1(VALU_DEP_1)
	v_cndmask_b32_e64 v3, v3, 0xffffff82, vcc_lo
	v_add3_u32 v119, v46, v3, v30
	v_and_b32_e32 v3, 0x1fffff, v118
                                        ; implicit-def: $vgpr30
	s_delay_alu instid0(VALU_DEP_1) | instskip(SKIP_1) | instid1(VALU_DEP_2)
	v_dual_add_nc_u32 v118, 14, v119 :: v_dual_add_nc_u32 v2, v3, v2
	v_mov_b32_e32 v3, v65
	v_cmpx_ne_u32_e32 0, v118
	s_xor_b32 s7, exec_lo, s7
; %bb.1501:                             ;   in Loop: Header=BB0_979 Depth=2
	s_delay_alu instid0(VALU_DEP_2) | instskip(SKIP_1) | instid1(VALU_DEP_1)
	v_cmp_lt_u64_e32 vcc_lo, 0xffffff, v[2:3]
	v_add_nc_u32_e32 v30, 15, v119
	v_cndmask_b32_e32 v30, v118, v30, vcc_lo
	v_cndmask_b32_e64 v118, 0, 1, vcc_lo
	s_delay_alu instid0(VALU_DEP_1)
	v_lshrrev_b64 v[2:3], v118, v[2:3]
; %bb.1502:                             ;   in Loop: Header=BB0_979 Depth=2
	s_and_not1_saveexec_b32 s7, s7
; %bb.1503:                             ;   in Loop: Header=BB0_979 Depth=2
	s_delay_alu instid0(VALU_DEP_1)
	v_bfe_u32 v30, v2, 23, 1
; %bb.1504:                             ;   in Loop: Header=BB0_979 Depth=2
	s_or_b32 exec_lo, exec_lo, s7
	s_delay_alu instid0(VALU_DEP_2) | instskip(NEXT) | instid1(VALU_DEP_2)
	v_lshrrev_b64 v[2:3], 21, v[2:3]
	v_cmp_gt_i32_e32 vcc_lo, 32, v30
	v_min_i32_e32 v118, 31, v30
	v_cmp_eq_u32_e64 s7, 0, v30
	s_delay_alu instid0(VALU_DEP_2) | instskip(SKIP_1) | instid1(VALU_DEP_2)
	v_dual_cndmask_b32 v3, 0, v3 :: v_dual_lshlrev_b32 v118, 2, v118
	v_cndmask_b32_e32 v2, 3, v2, vcc_lo
	v_and_b32_e32 v118, 0xfc, v118
	s_delay_alu instid0(VALU_DEP_2) | instskip(NEXT) | instid1(VALU_DEP_2)
	v_cmp_eq_u64_e32 vcc_lo, 0, v[2:3]
	v_and_or_b32 v2, v2, 3, v118
	s_and_b32 s7, s7, vcc_lo
	s_delay_alu instid0(VALU_DEP_1) | instid1(SALU_CYCLE_1)
	v_cndmask_b32_e64 v2, v2, 0, s7
	s_delay_alu instid0(VALU_DEP_1)
	v_or_b32_e32 v118, v2, v5
.LBB0_1505:                             ;   in Loop: Header=BB0_979 Depth=2
	s_or_b32 exec_lo, exec_lo, s21
                                        ; implicit-def: $vgpr5
.LBB0_1506:                             ;   in Loop: Header=BB0_979 Depth=2
	s_and_not1_saveexec_b32 s7, s20
; %bb.1507:                             ;   in Loop: Header=BB0_979 Depth=2
	v_or_b32_e32 v118, 0x7b, v5
; %bb.1508:                             ;   in Loop: Header=BB0_979 Depth=2
	s_or_b32 exec_lo, exec_lo, s7
                                        ; implicit-def: $vgpr30
                                        ; implicit-def: $vgpr2_vgpr3
                                        ; implicit-def: $vgpr5
.LBB0_1509:                             ;   in Loop: Header=BB0_979 Depth=2
	s_and_not1_saveexec_b32 s7, s19
	s_cbranch_execz .LBB0_1515
; %bb.1510:                             ;   in Loop: Header=BB0_979 Depth=2
	s_mov_b32 s19, exec_lo
                                        ; implicit-def: $vgpr118
	v_cmpx_ne_u64_e32 0, v[2:3]
	s_xor_b32 s19, exec_lo, s19
; %bb.1511:                             ;   in Loop: Header=BB0_979 Depth=2
	v_or_b32_e32 v118, 0x7f, v5
                                        ; implicit-def: $vgpr30
; %bb.1512:                             ;   in Loop: Header=BB0_979 Depth=2
	s_and_not1_saveexec_b32 s19, s19
; %bb.1513:                             ;   in Loop: Header=BB0_979 Depth=2
	v_cmp_lt_i32_e32 vcc_lo, -1, v30
	v_cndmask_b32_e32 v118, 0xfc, v59, vcc_lo
; %bb.1514:                             ;   in Loop: Header=BB0_979 Depth=2
	s_or_b32 exec_lo, exec_lo, s19
.LBB0_1515:                             ;   in Loop: Header=BB0_979 Depth=2
	s_delay_alu instid0(SALU_CYCLE_1) | instskip(SKIP_3) | instid1(VALU_DEP_2)
	s_or_b32 exec_lo, exec_lo, s7
	v_dual_mov_b32 v2, v65 :: v_dual_mov_b32 v3, v4
	v_dual_mov_b32 v5, 0 :: v_dual_mov_b32 v119, 0
	s_mov_b32 s7, exec_lo
	v_cmpx_lt_u64_e64 s[12:13], v[2:3]
	s_cbranch_execz .LBB0_1525
; %bb.1516:                             ;   in Loop: Header=BB0_979 Depth=2
	v_lshrrev_b32_e32 v30, 24, v4
	v_bfrev_b32_e32 v119, 1
	s_mov_b32 s19, exec_lo
	s_delay_alu instid0(VALU_DEP_2)
	v_cmpx_ne_u32_e32 0x80, v30
	s_cbranch_execz .LBB0_1524
; %bb.1517:                             ;   in Loop: Header=BB0_979 Depth=2
	v_and_b32_e32 v119, 0x7c000000, v4
	v_bfe_u32 v46, v4, 24, 2
	s_delay_alu instid0(VALU_DEP_2) | instskip(SKIP_1) | instid1(SALU_CYCLE_1)
	v_cmp_ne_u32_e32 vcc_lo, 0x7c000000, v119
                                        ; implicit-def: $vgpr119
	s_and_saveexec_b32 s20, vcc_lo
	s_xor_b32 s20, exec_lo, s20
	s_cbranch_execz .LBB0_1521
; %bb.1518:                             ;   in Loop: Header=BB0_979 Depth=2
	v_bfe_u32 v2, v4, 26, 5
	s_mov_b32 s21, exec_lo
	s_delay_alu instid0(VALU_DEP_1)
	v_cmpx_eq_u32_e32 0, v2
; %bb.1519:                             ;   in Loop: Header=BB0_979 Depth=2
	v_clz_i32_u32_e32 v2, v46
	s_delay_alu instid0(VALU_DEP_1) | instskip(NEXT) | instid1(VALU_DEP_1)
	v_min_u32_e32 v2, 32, v2
	v_subrev_nc_u32_e32 v3, 29, v2
	v_sub_nc_u32_e32 v2, 30, v2
	s_delay_alu instid0(VALU_DEP_2) | instskip(NEXT) | instid1(VALU_DEP_1)
	v_lshlrev_b64_e32 v[46:47], v3, v[30:31]
	v_and_b32_e32 v46, 3, v46
; %bb.1520:                             ;   in Loop: Header=BB0_979 Depth=2
	s_or_b32 exec_lo, exec_lo, s21
	v_and_b32_e32 v3, 0x80000000, v4
	s_delay_alu instid0(VALU_DEP_1) | instskip(NEXT) | instid1(VALU_DEP_1)
	v_lshl_add_u32 v2, v2, 23, v3
	v_lshl_or_b32 v2, v46, 21, v2
                                        ; implicit-def: $vgpr46
	s_delay_alu instid0(VALU_DEP_1)
	v_add_nc_u32_e32 v119, 0x38000000, v2
                                        ; implicit-def: $vgpr2_vgpr3
.LBB0_1521:                             ;   in Loop: Header=BB0_979 Depth=2
	s_and_not1_saveexec_b32 s20, s20
; %bb.1522:                             ;   in Loop: Header=BB0_979 Depth=2
	v_cmp_lt_i64_e32 vcc_lo, -1, v[2:3]
	v_cndmask_b32_e32 v2, 0xff800000, v21, vcc_lo
	v_cmp_eq_u32_e32 vcc_lo, 0, v46
	s_delay_alu instid0(VALU_DEP_2)
	v_cndmask_b32_e32 v119, 0x7f800001, v2, vcc_lo
; %bb.1523:                             ;   in Loop: Header=BB0_979 Depth=2
	s_or_b32 exec_lo, exec_lo, s20
.LBB0_1524:                             ;   in Loop: Header=BB0_979 Depth=2
	s_delay_alu instid0(SALU_CYCLE_1)
	s_or_b32 exec_lo, exec_lo, s19
.LBB0_1525:                             ;   in Loop: Header=BB0_979 Depth=2
	s_delay_alu instid0(SALU_CYCLE_1) | instskip(NEXT) | instid1(SALU_CYCLE_1)
	s_or_b32 exec_lo, exec_lo, s7
	s_mov_b32 s7, exec_lo
	v_cmpx_lt_u32_e32 0xffffff, v64
	s_cbranch_execz .LBB0_1535
; %bb.1526:                             ;   in Loop: Header=BB0_979 Depth=2
	v_lshrrev_b32_e32 v2, 24, v64
	v_bfrev_b32_e32 v5, 1
	s_mov_b32 s19, exec_lo
	s_delay_alu instid0(VALU_DEP_2)
	v_cmpx_ne_u32_e32 0x80, v2
	s_cbranch_execz .LBB0_1534
; %bb.1527:                             ;   in Loop: Header=BB0_979 Depth=2
	v_and_b32_e32 v4, 0x7c000000, v64
	v_bfe_u32 v3, v64, 24, 2
	s_mov_b32 s20, exec_lo
                                        ; implicit-def: $vgpr5
	s_delay_alu instid0(VALU_DEP_2)
	v_cmpx_ne_u32_e32 0x7c000000, v4
	s_xor_b32 s20, exec_lo, s20
	s_cbranch_execz .LBB0_1531
; %bb.1528:                             ;   in Loop: Header=BB0_979 Depth=2
	v_bfe_u32 v4, v64, 26, 5
	s_mov_b32 s21, exec_lo
	s_delay_alu instid0(VALU_DEP_1)
	v_cmpx_eq_u32_e32 0, v4
; %bb.1529:                             ;   in Loop: Header=BB0_979 Depth=2
	v_clz_i32_u32_e32 v3, v3
	s_delay_alu instid0(VALU_DEP_1) | instskip(NEXT) | instid1(VALU_DEP_1)
	v_min_u32_e32 v4, 32, v3
	v_subrev_nc_u32_e32 v3, 29, v4
	s_delay_alu instid0(VALU_DEP_1) | instskip(NEXT) | instid1(VALU_DEP_1)
	v_lshlrev_b64_e32 v[2:3], v3, v[2:3]
	v_dual_sub_nc_u32 v4, 30, v4 :: v_dual_bitop2_b32 v3, 3, v2 bitop3:0x40
; %bb.1530:                             ;   in Loop: Header=BB0_979 Depth=2
	s_or_b32 exec_lo, exec_lo, s21
	v_and_b32_e32 v2, 0x80000000, v64
	s_delay_alu instid0(VALU_DEP_1) | instskip(NEXT) | instid1(VALU_DEP_1)
	v_lshl_add_u32 v2, v4, 23, v2
	v_lshl_or_b32 v2, v3, 21, v2
                                        ; implicit-def: $vgpr3
	s_delay_alu instid0(VALU_DEP_1)
	v_add_nc_u32_e32 v5, 0x38000000, v2
.LBB0_1531:                             ;   in Loop: Header=BB0_979 Depth=2
	s_and_not1_saveexec_b32 s20, s20
; %bb.1532:                             ;   in Loop: Header=BB0_979 Depth=2
	v_cmp_lt_i32_e32 vcc_lo, -1, v64
	v_cndmask_b32_e32 v2, 0xff800000, v21, vcc_lo
	v_cmp_eq_u32_e32 vcc_lo, 0, v3
	s_delay_alu instid0(VALU_DEP_2)
	v_cndmask_b32_e32 v5, 0x7f800001, v2, vcc_lo
; %bb.1533:                             ;   in Loop: Header=BB0_979 Depth=2
	s_or_b32 exec_lo, exec_lo, s20
.LBB0_1534:                             ;   in Loop: Header=BB0_979 Depth=2
	s_delay_alu instid0(SALU_CYCLE_1)
	s_or_b32 exec_lo, exec_lo, s19
.LBB0_1535:                             ;   in Loop: Header=BB0_979 Depth=2
	s_delay_alu instid0(SALU_CYCLE_1) | instskip(NEXT) | instid1(VALU_DEP_1)
	s_or_b32 exec_lo, exec_lo, s7
	v_dual_add_f32 v3, v119, v5 :: v_dual_mov_b32 v5, v65
                                        ; implicit-def: $vgpr2
	s_delay_alu instid0(VALU_DEP_1) | instskip(SKIP_1) | instid1(VALU_DEP_2)
	v_and_b32_e32 v4, 0x7f800000, v3
	v_and_b32_e32 v64, 0x7fffff, v3
	v_cmp_ne_u64_e32 vcc_lo, 0x7f800000, v[4:5]
	v_lshrrev_b32_e32 v4, 24, v3
	s_and_saveexec_b32 s7, vcc_lo
	s_delay_alu instid0(SALU_CYCLE_1)
	s_xor_b32 s19, exec_lo, s7
	s_cbranch_execz .LBB0_1549
; %bb.1536:                             ;   in Loop: Header=BB0_979 Depth=2
	v_and_b32_e32 v46, 0x7fffffff, v3
	v_mov_b32_e32 v47, v65
	v_and_b32_e32 v30, 0x80, v4
                                        ; implicit-def: $vgpr2
	s_mov_b32 s7, exec_lo
	s_delay_alu instid0(VALU_DEP_2)
	v_cmpx_gt_u64_e32 0x47600001, v[46:47]
	s_xor_b32 s20, exec_lo, s7
	s_cbranch_execz .LBB0_1546
; %bb.1537:                             ;   in Loop: Header=BB0_979 Depth=2
	v_mov_b32_e32 v2, 0
	s_mov_b32 s21, exec_lo
	v_cmpx_ne_u32_e32 0, v3
	s_cbranch_execz .LBB0_1545
; %bb.1538:                             ;   in Loop: Header=BB0_979 Depth=2
	v_bfe_u32 v119, v3, 23, 8
	v_or_b32_e32 v4, 0x800000, v64
	s_delay_alu instid0(VALU_DEP_2) | instskip(SKIP_1) | instid1(VALU_DEP_2)
	v_sub_nc_u32_e32 v2, 0x71, v119
	v_cmp_gt_u32_e32 vcc_lo, 0x72, v119
	v_cndmask_b32_e32 v2, 0, v2, vcc_lo
	v_cmp_eq_u32_e32 vcc_lo, 0, v119
	v_cndmask_b32_e32 v64, v4, v64, vcc_lo
	s_delay_alu instid0(VALU_DEP_3) | instskip(NEXT) | instid1(VALU_DEP_1)
	v_cndmask_b32_e64 v46, v2, 0x70, vcc_lo
	v_dual_add_nc_u32 v2, 21, v46 :: v_dual_add_nc_u32 v5, 20, v46
	s_delay_alu instid0(VALU_DEP_1) | instskip(NEXT) | instid1(VALU_DEP_2)
	v_lshlrev_b64_e64 v[2:3], v2, -1
	v_lshlrev_b64_e64 v[4:5], v5, 1
	s_delay_alu instid0(VALU_DEP_2) | instskip(NEXT) | instid1(VALU_DEP_3)
	v_bfi_b32 v63, v3, 0, 0
	v_bfi_b32 v62, v2, 0, v64
	v_lshrrev_b64 v[2:3], v46, v[64:65]
	s_delay_alu instid0(VALU_DEP_2) | instskip(NEXT) | instid1(VALU_DEP_2)
	v_cmp_eq_u64_e64 s7, v[62:63], v[4:5]
	v_mov_b64_e32 v[4:5], v[2:3]
	s_and_saveexec_b32 s22, s7
; %bb.1539:                             ;   in Loop: Header=BB0_979 Depth=2
	v_bfe_u32 v64, v2, 21, 1
	s_delay_alu instid0(VALU_DEP_1) | instskip(NEXT) | instid1(VALU_DEP_1)
	v_add_nc_u64_e32 v[4:5], v[2:3], v[64:65]
	v_add_nc_u64_e32 v[4:5], -1, v[4:5]
; %bb.1540:                             ;   in Loop: Header=BB0_979 Depth=2
	s_or_b32 exec_lo, exec_lo, s22
	v_add_nc_u32_e32 v3, 0xffffff81, v119
	v_lshrrev_b32_e32 v5, 23, v2
	s_mov_b32 s7, exec_lo
	s_delay_alu instid0(VALU_DEP_2) | instskip(NEXT) | instid1(VALU_DEP_1)
	v_cndmask_b32_e64 v3, v3, 0xffffff82, vcc_lo
	v_add3_u32 v5, v46, v3, v5
	v_and_b32_e32 v3, 0x1fffff, v4
                                        ; implicit-def: $vgpr4
	s_delay_alu instid0(VALU_DEP_1) | instskip(NEXT) | instid1(VALU_DEP_1)
	v_dual_add_nc_u32 v119, 14, v5 :: v_dual_add_nc_u32 v64, v3, v2
                                        ; implicit-def: $vgpr2_vgpr3
	v_cmpx_ne_u32_e32 0, v119
	s_xor_b32 s7, exec_lo, s7
; %bb.1541:                             ;   in Loop: Header=BB0_979 Depth=2
	s_delay_alu instid0(VALU_DEP_2) | instskip(SKIP_1) | instid1(VALU_DEP_1)
	v_cmp_lt_u64_e32 vcc_lo, 0xffffff, v[64:65]
	v_add_nc_u32_e32 v2, 15, v5
	v_cndmask_b32_e32 v4, v119, v2, vcc_lo
	v_cndmask_b32_e64 v2, 0, 1, vcc_lo
	s_delay_alu instid0(VALU_DEP_1)
	v_lshrrev_b64 v[2:3], v2, v[64:65]
; %bb.1542:                             ;   in Loop: Header=BB0_979 Depth=2
	s_and_not1_saveexec_b32 s7, s7
; %bb.1543:                             ;   in Loop: Header=BB0_979 Depth=2
	v_mov_b64_e32 v[2:3], v[64:65]
	v_bfe_u32 v4, v64, 23, 1
; %bb.1544:                             ;   in Loop: Header=BB0_979 Depth=2
	s_or_b32 exec_lo, exec_lo, s7
	s_delay_alu instid0(VALU_DEP_2) | instskip(NEXT) | instid1(VALU_DEP_2)
	v_lshrrev_b64 v[2:3], 21, v[2:3]
	v_cmp_gt_i32_e32 vcc_lo, 32, v4
	v_min_i32_e32 v5, 31, v4
	v_cmp_eq_u32_e64 s7, 0, v4
	s_delay_alu instid0(VALU_DEP_2) | instskip(SKIP_1) | instid1(VALU_DEP_2)
	v_dual_cndmask_b32 v3, 0, v3, vcc_lo :: v_dual_lshlrev_b32 v5, 2, v5
	v_cndmask_b32_e32 v2, 3, v2, vcc_lo
	v_and_b32_e32 v5, 0xfc, v5
	s_delay_alu instid0(VALU_DEP_2) | instskip(NEXT) | instid1(VALU_DEP_2)
	v_cmp_eq_u64_e32 vcc_lo, 0, v[2:3]
	v_and_or_b32 v2, v2, 3, v5
	s_and_b32 s7, s7, vcc_lo
	s_delay_alu instid0(VALU_DEP_1) | instid1(SALU_CYCLE_1)
	v_cndmask_b32_e64 v2, v2, 0, s7
	s_delay_alu instid0(VALU_DEP_1)
	v_or_b32_e32 v2, v2, v30
.LBB0_1545:                             ;   in Loop: Header=BB0_979 Depth=2
	s_or_b32 exec_lo, exec_lo, s21
                                        ; implicit-def: $vgpr30
.LBB0_1546:                             ;   in Loop: Header=BB0_979 Depth=2
	s_and_not1_saveexec_b32 s7, s20
; %bb.1547:                             ;   in Loop: Header=BB0_979 Depth=2
	v_or_b32_e32 v2, 0x7b, v30
; %bb.1548:                             ;   in Loop: Header=BB0_979 Depth=2
	s_or_b32 exec_lo, exec_lo, s7
                                        ; implicit-def: $vgpr3
                                        ; implicit-def: $vgpr4
.LBB0_1549:                             ;   in Loop: Header=BB0_979 Depth=2
	s_and_not1_saveexec_b32 s7, s19
	s_cbranch_execz .LBB0_1555
; %bb.1550:                             ;   in Loop: Header=BB0_979 Depth=2
	s_mov_b32 s19, exec_lo
                                        ; implicit-def: $vgpr2
	v_cmpx_ne_u64_e32 0, v[64:65]
	s_xor_b32 s19, exec_lo, s19
; %bb.1551:                             ;   in Loop: Header=BB0_979 Depth=2
	v_or_b32_e32 v2, 0x7f, v4
                                        ; implicit-def: $vgpr3
; %bb.1552:                             ;   in Loop: Header=BB0_979 Depth=2
	s_and_not1_saveexec_b32 s19, s19
; %bb.1553:                             ;   in Loop: Header=BB0_979 Depth=2
	v_cmp_lt_i32_e32 vcc_lo, -1, v3
	v_cndmask_b32_e32 v2, 0xfc, v59, vcc_lo
; %bb.1554:                             ;   in Loop: Header=BB0_979 Depth=2
	s_or_b32 exec_lo, exec_lo, s19
.LBB0_1555:                             ;   in Loop: Header=BB0_979 Depth=2
	s_delay_alu instid0(SALU_CYCLE_1) | instskip(SKIP_1) | instid1(VALU_DEP_2)
	s_or_b32 exec_lo, exec_lo, s7
	v_dual_lshlrev_b32 v3, 16, v40 :: v_dual_lshlrev_b32 v4, 16, v118
	v_dual_lshlrev_b32 v5, 24, v41 :: v_dual_lshlrev_b32 v30, 24, v2
	v_cmp_lt_u32_e32 vcc_lo, 7, v61
	s_delay_alu instid0(VALU_DEP_3) | instskip(NEXT) | instid1(VALU_DEP_4)
	v_lshl_or_b32 v2, v44, 8, v3
	v_lshl_or_b32 v3, v45, 8, v4
	s_mov_b32 s7, -1
	s_cmp_lg_u32 vcc_lo, exec_lo
	s_delay_alu instid0(VALU_DEP_2) | instskip(NEXT) | instid1(VALU_DEP_2)
	v_or3_b32 v2, v2, v5, v117
	v_or3_b32 v3, v3, v30, v43
	s_cbranch_scc0 .LBB0_1571
; %bb.1556:                             ;   in Loop: Header=BB0_979 Depth=2
	s_mov_b32 s19, exec_lo
	flat_store_b8 v[18:19], v117
	s_wait_xcnt 0x0
	v_cmpx_ne_u32_e32 1, v61
	s_cbranch_execz .LBB0_1558
; %bb.1557:                             ;   in Loop: Header=BB0_979 Depth=2
	v_lshrrev_b32_e32 v4, 8, v2
	flat_store_b8 v[18:19], v4 offset:1
.LBB0_1558:                             ;   in Loop: Header=BB0_979 Depth=2
	s_wait_xcnt 0x0
	s_or_b32 exec_lo, exec_lo, s19
	s_delay_alu instid0(SALU_CYCLE_1)
	s_mov_b32 s19, exec_lo
	v_cmpx_lt_u32_e32 2, v61
	s_cbranch_execz .LBB0_1560
; %bb.1559:                             ;   in Loop: Header=BB0_979 Depth=2
	flat_store_d16_hi_b8 v[18:19], v2 offset:2
.LBB0_1560:                             ;   in Loop: Header=BB0_979 Depth=2
	s_wait_xcnt 0x0
	s_or_b32 exec_lo, exec_lo, s19
	s_delay_alu instid0(SALU_CYCLE_1)
	s_mov_b32 s19, exec_lo
	v_cmpx_lt_u32_e32 3, v61
	s_cbranch_execz .LBB0_1562
; %bb.1561:                             ;   in Loop: Header=BB0_979 Depth=2
	v_lshrrev_b32_e32 v4, 24, v2
	flat_store_b8 v[18:19], v4 offset:3
.LBB0_1562:                             ;   in Loop: Header=BB0_979 Depth=2
	s_wait_xcnt 0x0
	s_or_b32 exec_lo, exec_lo, s19
	s_delay_alu instid0(SALU_CYCLE_1)
	s_mov_b32 s19, exec_lo
	v_cmpx_lt_u32_e32 4, v61
	s_cbranch_execz .LBB0_1564
; %bb.1563:                             ;   in Loop: Header=BB0_979 Depth=2
	flat_store_b8 v[18:19], v43 offset:4
.LBB0_1564:                             ;   in Loop: Header=BB0_979 Depth=2
	s_wait_xcnt 0x0
	s_or_b32 exec_lo, exec_lo, s19
	s_delay_alu instid0(SALU_CYCLE_1)
	s_mov_b32 s19, exec_lo
	v_cmpx_lt_u32_e32 5, v61
	s_cbranch_execz .LBB0_1566
; %bb.1565:                             ;   in Loop: Header=BB0_979 Depth=2
	v_lshrrev_b32_e32 v4, 8, v3
	flat_store_b8 v[18:19], v4 offset:5
.LBB0_1566:                             ;   in Loop: Header=BB0_979 Depth=2
	s_wait_xcnt 0x0
	s_or_b32 exec_lo, exec_lo, s19
	s_delay_alu instid0(SALU_CYCLE_1)
	s_mov_b32 s19, exec_lo
	v_cmpx_lt_u32_e32 6, v61
	s_cbranch_execz .LBB0_1568
; %bb.1567:                             ;   in Loop: Header=BB0_979 Depth=2
	flat_store_d16_hi_b8 v[18:19], v3 offset:6
.LBB0_1568:                             ;   in Loop: Header=BB0_979 Depth=2
	s_wait_xcnt 0x0
	s_or_b32 exec_lo, exec_lo, s19
	s_and_saveexec_b32 s7, vcc_lo
	s_cbranch_execz .LBB0_1570
; %bb.1569:                             ;   in Loop: Header=BB0_979 Depth=2
	v_lshrrev_b32_e32 v4, 24, v3
	flat_store_b8 v[18:19], v4 offset:7
.LBB0_1570:                             ;   in Loop: Header=BB0_979 Depth=2
	s_wait_xcnt 0x0
	s_or_b32 exec_lo, exec_lo, s7
	s_mov_b32 s7, 0
.LBB0_1571:                             ;   in Loop: Header=BB0_979 Depth=2
	s_delay_alu instid0(SALU_CYCLE_1)
	s_and_b32 vcc_lo, exec_lo, s7
	s_cbranch_vccz .LBB0_978
; %bb.1572:                             ;   in Loop: Header=BB0_979 Depth=2
	global_store_b64 v[18:19], v[2:3], off
	s_branch .LBB0_978
.LBB0_1573:                             ;   in Loop: Header=BB0_46 Depth=1
	s_or_b32 exec_lo, exec_lo, s18
	s_delay_alu instid0(SALU_CYCLE_1)
	s_or_b32 exec_lo, exec_lo, s8
	s_and_saveexec_b32 s7, s3
	s_cbranch_execz .LBB0_976
.LBB0_1574:                             ;   in Loop: Header=BB0_46 Depth=1
	s_and_saveexec_b32 s8, s4
	s_delay_alu instid0(SALU_CYCLE_1)
	s_xor_b32 s8, exec_lo, s8
	s_cbranch_execz .LBB0_1589
; %bb.1575:                             ;   in Loop: Header=BB0_46 Depth=1
	s_and_saveexec_b32 s18, s5
	s_cbranch_execz .LBB0_1588
; %bb.1576:                             ;   in Loop: Header=BB0_46 Depth=1
	s_mov_b32 s20, exec_lo
	s_mov_b32 s19, exec_lo
	v_mbcnt_lo_u32_b32 v2, s20, 0
	global_wb scope:SCOPE_DEV
	s_wait_storecnt_dscnt 0x0
	global_inv scope:SCOPE_DEV
	v_cmpx_eq_u32_e32 0, v2
	s_cbranch_execz .LBB0_1578
; %bb.1577:                             ;   in Loop: Header=BB0_46 Depth=1
	s_bcnt1_i32_b32 s20, s20
	s_delay_alu instid0(SALU_CYCLE_1)
	v_mov_b32_e32 v64, s20
	s_wait_loadcnt 0x0
	ds_add_u64 v0, v[64:65]
	s_trap 2
.LBB0_1578:                             ;   in Loop: Header=BB0_46 Depth=1
	s_or_b32 exec_lo, exec_lo, s19
	s_trap 2
	ds_load_b64 v[2:3], v0
	s_wait_dscnt 0x0
	v_add_nc_u64_e32 v[52:53], v[52:53], v[82:83]
	s_mov_b32 s19, exec_lo
	s_delay_alu instid0(VALU_DEP_1)
	v_cmpx_lt_u64_e64 v[2:3], v[52:53]
	s_cbranch_execz .LBB0_1587
; %bb.1579:                             ;   in Loop: Header=BB0_46 Depth=1
	s_mov_b32 s20, 0
	s_mov_b32 s23, 0
                                        ; implicit-def: $sgpr21
                                        ; implicit-def: $sgpr22
	s_branch .LBB0_1581
.LBB0_1580:                             ;   in Loop: Header=BB0_1581 Depth=2
	s_or_b32 exec_lo, exec_lo, s25
	s_delay_alu instid0(SALU_CYCLE_1) | instskip(NEXT) | instid1(SALU_CYCLE_1)
	s_and_b32 s24, exec_lo, s26
	s_or_b32 s20, s24, s20
	s_and_not1_b32 s21, s21, exec_lo
	s_and_b32 s24, s22, exec_lo
	s_delay_alu instid0(SALU_CYCLE_1)
	s_or_b32 s21, s21, s24
	s_and_not1_b32 exec_lo, exec_lo, s20
	s_cbranch_execz .LBB0_1585
.LBB0_1581:                             ;   Parent Loop BB0_46 Depth=1
                                        ; =>  This Inner Loop Header: Depth=2
	s_add_co_i32 s23, s23, 1
	s_delay_alu instid0(SALU_CYCLE_1) | instskip(SKIP_1) | instid1(SALU_CYCLE_1)
	s_cmp_lg_u32 s23, 0x2710
	s_cselect_b32 s24, -1, 0
	s_and_b32 vcc_lo, exec_lo, s24
	s_cbranch_vccz .LBB0_1583
; %bb.1582:                             ;   in Loop: Header=BB0_1581 Depth=2
	s_mov_b32 s26, -1
	s_or_b32 s22, s22, exec_lo
	s_and_saveexec_b32 s25, s24
	s_cbranch_execz .LBB0_1580
	s_branch .LBB0_1584
.LBB0_1583:                             ;   in Loop: Header=BB0_1581 Depth=2
	s_trap 2
	ds_load_b64 v[2:3], v0
	s_and_not1_b32 s24, s24, exec_lo
	s_mov_b32 s23, 0
	s_wait_loadcnt_dscnt 0x0
	flat_load_b32 v2, v[2:3] scope:SCOPE_SYS
	s_wait_loadcnt_dscnt 0x0
	global_inv scope:SCOPE_SYS
	v_cmp_eq_u32_e32 vcc_lo, 0, v2
	s_and_b32 s25, vcc_lo, exec_lo
	s_delay_alu instid0(SALU_CYCLE_1)
	s_or_b32 s24, s24, s25
	s_mov_b32 s26, -1
	s_or_b32 s22, s22, exec_lo
	s_and_saveexec_b32 s25, s24
	s_cbranch_execz .LBB0_1580
.LBB0_1584:                             ;   in Loop: Header=BB0_1581 Depth=2
	s_sleep 1
	s_trap 2
	ds_load_b64 v[2:3], v0
	s_wait_dscnt 0x0
	s_and_not1_b32 s22, s22, exec_lo
	v_cmp_ge_u64_e32 vcc_lo, v[2:3], v[52:53]
	s_or_not1_b32 s26, vcc_lo, exec_lo
	s_branch .LBB0_1580
.LBB0_1585:                             ;   in Loop: Header=BB0_46 Depth=1
	s_or_b32 exec_lo, exec_lo, s20
	s_and_saveexec_b32 s20, s21
	s_delay_alu instid0(SALU_CYCLE_1)
	s_xor_b32 s20, exec_lo, s20
	s_cbranch_execz .LBB0_1587
; %bb.1586:                             ;   in Loop: Header=BB0_46 Depth=1
	ds_store_b32 v0, v1
	s_trap 2
.LBB0_1587:                             ;   in Loop: Header=BB0_46 Depth=1
	s_or_b32 exec_lo, exec_lo, s19
	;;#ASMSTART
	s_wakeup
	;;#ASMEND
.LBB0_1588:                             ;   in Loop: Header=BB0_46 Depth=1
	s_or_b32 exec_lo, exec_lo, s18
.LBB0_1589:                             ;   in Loop: Header=BB0_46 Depth=1
	s_and_not1_saveexec_b32 s8, s8
	s_cbranch_execz .LBB0_1591
; %bb.1590:                             ;   in Loop: Header=BB0_46 Depth=1
	global_wb scope:SCOPE_DEV
	s_wait_storecnt 0x0
	s_wait_loadcnt_dscnt 0x0
	global_inv scope:SCOPE_DEV
	s_barrier_signal -1
	s_barrier_wait -1
.LBB0_1591:                             ;   in Loop: Header=BB0_46 Depth=1
	s_or_b32 exec_lo, exec_lo, s8
	s_delay_alu instid0(SALU_CYCLE_1)
	s_or_b32 exec_lo, exec_lo, s7
	s_and_saveexec_b32 s7, s6
	s_cbranch_execz .LBB0_45
.LBB0_1592:                             ;   in Loop: Header=BB0_46 Depth=1
	v_add_nc_u64_e32 v[38:39], 1, v[38:39]
	global_wb scope:SCOPE_SYS
	s_wait_storecnt 0x0
	s_wait_loadcnt_dscnt 0x0
	flat_store_b64 v[48:49], v[38:39] scope:SCOPE_SYS
	s_branch .LBB0_45
.LBB0_1593:
	s_or_b32 exec_lo, exec_lo, s16
	s_delay_alu instid0(SALU_CYCLE_1)
	s_or_b32 exec_lo, exec_lo, s14
	s_and_saveexec_b32 s1, s9
	s_cbranch_execz .LBB0_30
.LBB0_1594:
	s_wait_dscnt 0x0
	flat_store_b64 v[28:29], v[38:39] offset:104
	s_wait_xcnt 0x0
	s_or_b32 exec_lo, exec_lo, s1
	s_and_saveexec_b32 s1, s0
	s_cbranch_execnz .LBB0_31
	s_branch .LBB0_32
.LBB0_1595:
	s_or_b32 exec_lo, exec_lo, s4
	s_and_saveexec_b32 s4, s5
	s_delay_alu instid0(SALU_CYCLE_1)
	s_xor_b32 s4, exec_lo, s4
	s_cbranch_execz .LBB0_1597
; %bb.1596:
	v_mov_b32_e32 v0, 1
	ds_store_b32 v0, v0
	s_trap 2
.LBB0_1597:
	s_or_b32 exec_lo, exec_lo, s3
	;;#ASMSTART
	s_wakeup
	;;#ASMEND
.LBB0_1598:
	s_or_b32 exec_lo, exec_lo, s2
.LBB0_1599:
	s_and_not1_saveexec_b32 s1, s1
	s_cbranch_execz .LBB0_1601
; %bb.1600:
	global_wb scope:SCOPE_DEV
	s_wait_storecnt 0x0
	s_wait_loadcnt_dscnt 0x0
	global_inv scope:SCOPE_DEV
	s_barrier_signal -1
	s_barrier_wait -1
.LBB0_1601:
	s_or_b32 exec_lo, exec_lo, s0
	s_clause 0x1b
	scratch_load_b32 v91, off, s32
	scratch_load_b32 v90, off, s32 offset:4
	scratch_load_b32 v89, off, s32 offset:8
	;; [unrolled: 1-line block ×27, first 2 shown]
	s_wait_loadcnt_dscnt 0x0
	s_set_pc_i64 s[30:31]
.Lfunc_end0:
	.size	_ZN12_GLOBAL__N_17runRingI14__hip_fp8_e5m213FuncPreMulSumIS1_E7ProtoLLLi0ELi1ELi0EEEviiP15ncclDevWorkColl, .Lfunc_end0-_ZN12_GLOBAL__N_17runRingI14__hip_fp8_e5m213FuncPreMulSumIS1_E7ProtoLLLi0ELi1ELi0EEEviiP15ncclDevWorkColl
                                        ; -- End function
	.set .L_ZN12_GLOBAL__N_17runRingI14__hip_fp8_e5m213FuncPreMulSumIS1_E7ProtoLLLi0ELi1ELi0EEEviiP15ncclDevWorkColl.num_vgpr, 120
	.set .L_ZN12_GLOBAL__N_17runRingI14__hip_fp8_e5m213FuncPreMulSumIS1_E7ProtoLLLi0ELi1ELi0EEEviiP15ncclDevWorkColl.num_agpr, 0
	.set .L_ZN12_GLOBAL__N_17runRingI14__hip_fp8_e5m213FuncPreMulSumIS1_E7ProtoLLLi0ELi1ELi0EEEviiP15ncclDevWorkColl.numbered_sgpr, 41
	.set .L_ZN12_GLOBAL__N_17runRingI14__hip_fp8_e5m213FuncPreMulSumIS1_E7ProtoLLLi0ELi1ELi0EEEviiP15ncclDevWorkColl.num_named_barrier, 0
	.set .L_ZN12_GLOBAL__N_17runRingI14__hip_fp8_e5m213FuncPreMulSumIS1_E7ProtoLLLi0ELi1ELi0EEEviiP15ncclDevWorkColl.private_seg_size, 116
	.set .L_ZN12_GLOBAL__N_17runRingI14__hip_fp8_e5m213FuncPreMulSumIS1_E7ProtoLLLi0ELi1ELi0EEEviiP15ncclDevWorkColl.uses_vcc, 1
	.set .L_ZN12_GLOBAL__N_17runRingI14__hip_fp8_e5m213FuncPreMulSumIS1_E7ProtoLLLi0ELi1ELi0EEEviiP15ncclDevWorkColl.uses_flat_scratch, 1
	.set .L_ZN12_GLOBAL__N_17runRingI14__hip_fp8_e5m213FuncPreMulSumIS1_E7ProtoLLLi0ELi1ELi0EEEviiP15ncclDevWorkColl.has_dyn_sized_stack, 0
	.set .L_ZN12_GLOBAL__N_17runRingI14__hip_fp8_e5m213FuncPreMulSumIS1_E7ProtoLLLi0ELi1ELi0EEEviiP15ncclDevWorkColl.has_recursion, 0
	.set .L_ZN12_GLOBAL__N_17runRingI14__hip_fp8_e5m213FuncPreMulSumIS1_E7ProtoLLLi0ELi1ELi0EEEviiP15ncclDevWorkColl.has_indirect_call, 0
	.section	.AMDGPU.csdata,"",@progbits
; Function info:
; codeLenInByte = 46740
; TotalNumSgprs: 43
; NumVgprs: 120
; ScratchSize: 116
; MemoryBound: 0
	.text
	.p2align	2                               ; -- Begin function _Z56ncclDevFunc_ReduceScatter_RING_LL_PreMulSum_f8e5m2_0_0_1v
	.type	_Z56ncclDevFunc_ReduceScatter_RING_LL_PreMulSum_f8e5m2_0_0_1v,@function
_Z56ncclDevFunc_ReduceScatter_RING_LL_PreMulSum_f8e5m2_0_0_1v: ; @_Z56ncclDevFunc_ReduceScatter_RING_LL_PreMulSum_f8e5m2_0_0_1v
; %bb.0:
	s_wait_loadcnt_dscnt 0x0
	s_wait_kmcnt 0x0
	s_mov_b32 s56, s33
	s_mov_b32 s33, s32
	s_or_saveexec_b32 s0, -1
	scratch_store_b32 off, v41, s33 offset:4 ; 4-byte Folded Spill
	s_wait_xcnt 0x0
	s_mov_b32 exec_lo, s0
	s_add_co_i32 s32, s32, 16
	scratch_store_b32 off, v40, s33         ; 4-byte Folded Spill
	v_writelane_b32 v41, s30, 0
	v_writelane_b32 v41, s31, 1
	s_trap 2
	ds_load_b32 v0, v0
	s_wait_xcnt 0x0
	v_and_b32_e32 v40, 0x3ff, v31
	s_mov_b32 s41, s12
	s_mov_b64 s[42:43], s[8:9]
	s_mov_b32 s2, exec_lo
	s_wait_dscnt 0x0
	v_cmpx_lt_i32_e64 v40, v0
	s_cbranch_execz .LBB1_5
; %bb.1:
	s_load_b32 s0, s[42:43], 0x0
	s_bfe_u32 s1, ttmp6, 0x4000c
	s_and_b32 s3, ttmp6, 15
	s_add_co_i32 s1, s1, 1
	s_getreg_b32 s4, hwreg(HW_REG_IB_STS2, 6, 4)
	s_mul_i32 s1, ttmp9, s1
	v_mov_b32_e32 v2, v40
	s_add_co_i32 s3, s3, s1
	s_cmp_eq_u32 s4, 0
                                        ; implicit-def: $vgpr3
	s_cselect_b32 s1, ttmp9, s3
	s_mov_b32 s3, 0
	s_wait_kmcnt 0x0
	s_cmp_lt_u32 s1, s0
	s_mov_b32 s1, 0
	s_cselect_b32 s0, 12, 18
	s_delay_alu instid0(SALU_CYCLE_1)
	s_add_nc_u64 s[4:5], s[42:43], s[0:1]
	s_load_u16 s0, s[4:5], 0x0
	s_trap 2
	ds_load_b32 v1, v0
	s_wait_dscnt 0x0
	s_wait_kmcnt 0x0
	v_mul_lo_u32 v1, v1, s0
	s_branch .LBB1_3
.LBB1_2:                                ;   in Loop: Header=BB1_3 Depth=1
	s_or_b32 exec_lo, exec_lo, s4
	v_dual_add_nc_u32 v2, s0, v2 :: v_dual_add_nc_u32 v3, v3, v1
	s_delay_alu instid0(VALU_DEP_1) | instskip(SKIP_1) | instid1(SALU_CYCLE_1)
	v_cmp_ge_i32_e32 vcc_lo, v2, v0
	s_or_b32 s3, vcc_lo, s3
	s_and_not1_b32 exec_lo, exec_lo, s3
	s_cbranch_execz .LBB1_5
.LBB1_3:                                ; =>This Inner Loop Header: Depth=1
	ds_load_b32 v4, v3
	s_mov_b32 s4, exec_lo
	s_wait_dscnt 0x0
	v_and_b32_e32 v4, 0x1000000, v4
	s_delay_alu instid0(VALU_DEP_1)
	v_cmpx_ne_u32_e32 0, v4
	s_cbranch_execz .LBB1_2
; %bb.4:                                ;   in Loop: Header=BB1_3 Depth=1
	ds_load_b64 v[4:5], v3 offset:104
	s_wait_dscnt 0x0
	flat_load_u8 v4, v[4:5]
	s_wait_xcnt 0x0
	v_mov_b32_e32 v5, s1
	s_wait_loadcnt_dscnt 0x0
	v_and_b32_e32 v4, 0xffff, v4
	ds_store_b64 v3, v[4:5] offset:104
	s_branch .LBB1_2
.LBB1_5:
	s_or_b32 exec_lo, exec_lo, s2
	s_wait_storecnt_dscnt 0x0
	s_barrier_signal -1
	s_barrier_wait -1
	s_trap 2
	ds_load_b32 v0, v0
	s_wait_dscnt 0x0
	v_cmp_gt_i32_e32 vcc_lo, 1, v0
	s_cbranch_vccnz .LBB1_13
; %bb.6:
	s_mov_b32 s46, 0
	s_get_pc_i64 s[44:45]
	s_add_nc_u64 s[44:45], s[44:45], _ZN12_GLOBAL__N_17runRingI14__hip_fp8_e5m213FuncPreMulSumIS1_E7ProtoLLLi0ELi1ELi0EEEviiP15ncclDevWorkColl@rel64+4
	s_branch .LBB1_8
.LBB1_7:                                ;   in Loop: Header=BB1_8 Depth=1
	s_or_b32 exec_lo, exec_lo, s47
	s_trap 2
	ds_load_b32 v0, v0
	s_add_co_i32 s46, s46, 1
	s_wait_dscnt 0x0
	v_cmp_lt_i32_e32 vcc_lo, s46, v0
	s_cbranch_vccz .LBB1_13
.LBB1_8:                                ; =>This Inner Loop Header: Depth=1
	s_trap 2
	ds_load_b32 v0, v0
	s_cmp_eq_u32 s46, 0
	s_cbranch_scc1 .LBB1_11
; %bb.9:                                ;   in Loop: Header=BB1_8 Depth=1
	s_trap 2
	s_wait_dscnt 0x0
	ds_load_b32 v1, v0
	s_wait_dscnt 0x0
	v_xor_b32_e32 v1, v1, v0
	s_delay_alu instid0(VALU_DEP_1) | instskip(NEXT) | instid1(VALU_DEP_1)
	v_and_b32_e32 v1, 0xff0000, v1
	v_cmp_eq_u32_e32 vcc_lo, 0, v1
	s_cbranch_vccnz .LBB1_11
; %bb.10:                               ;   in Loop: Header=BB1_8 Depth=1
	s_barrier_signal -1
	s_barrier_wait -1
	ds_load_b32 v0, v0
.LBB1_11:                               ;   in Loop: Header=BB1_8 Depth=1
	s_wait_dscnt 0x0
	v_lshrrev_b32_e32 v0, 11, v0
	s_mov_b32 s47, exec_lo
	s_delay_alu instid0(VALU_DEP_1) | instskip(NEXT) | instid1(VALU_DEP_1)
	v_and_b32_e32 v1, 0x1fe0, v0
	v_cmpx_lt_u32_e64 v40, v1
	s_cbranch_execz .LBB1_7
; %bb.12:                               ;   in Loop: Header=BB1_8 Depth=1
	s_mov_b64 s[0:1], src_shared_base
	s_delay_alu instid0(SALU_CYCLE_1)
	v_dual_mov_b32 v0, v40 :: v_dual_mov_b32 v3, s1
	s_mov_b64 s[8:9], s[42:43]
	s_mov_b32 s12, s41
	s_swap_pc_i64 s[30:31], s[44:45]
	s_branch .LBB1_7
.LBB1_13:
	scratch_load_b32 v40, off, s33          ; 4-byte Folded Reload
	v_readlane_b32 s30, v41, 0
	v_readlane_b32 s31, v41, 1
	s_mov_b32 s32, s33
	s_wait_xcnt 0x0
	s_or_saveexec_b32 s0, -1
	scratch_load_b32 v41, off, s33 offset:4 ; 4-byte Folded Reload
	s_wait_xcnt 0x0
	s_mov_b32 exec_lo, s0
	s_mov_b32 s33, s56
	s_wait_loadcnt 0x0
	s_set_pc_i64 s[30:31]
.Lfunc_end1:
	.size	_Z56ncclDevFunc_ReduceScatter_RING_LL_PreMulSum_f8e5m2_0_0_1v, .Lfunc_end1-_Z56ncclDevFunc_ReduceScatter_RING_LL_PreMulSum_f8e5m2_0_0_1v
                                        ; -- End function
	.set .L_Z56ncclDevFunc_ReduceScatter_RING_LL_PreMulSum_f8e5m2_0_0_1v.num_vgpr, max(42, .L_ZN12_GLOBAL__N_17runRingI14__hip_fp8_e5m213FuncPreMulSumIS1_E7ProtoLLLi0ELi1ELi0EEEviiP15ncclDevWorkColl.num_vgpr)
	.set .L_Z56ncclDevFunc_ReduceScatter_RING_LL_PreMulSum_f8e5m2_0_0_1v.num_agpr, max(0, .L_ZN12_GLOBAL__N_17runRingI14__hip_fp8_e5m213FuncPreMulSumIS1_E7ProtoLLLi0ELi1ELi0EEEviiP15ncclDevWorkColl.num_agpr)
	.set .L_Z56ncclDevFunc_ReduceScatter_RING_LL_PreMulSum_f8e5m2_0_0_1v.numbered_sgpr, max(57, .L_ZN12_GLOBAL__N_17runRingI14__hip_fp8_e5m213FuncPreMulSumIS1_E7ProtoLLLi0ELi1ELi0EEEviiP15ncclDevWorkColl.numbered_sgpr)
	.set .L_Z56ncclDevFunc_ReduceScatter_RING_LL_PreMulSum_f8e5m2_0_0_1v.num_named_barrier, max(0, .L_ZN12_GLOBAL__N_17runRingI14__hip_fp8_e5m213FuncPreMulSumIS1_E7ProtoLLLi0ELi1ELi0EEEviiP15ncclDevWorkColl.num_named_barrier)
	.set .L_Z56ncclDevFunc_ReduceScatter_RING_LL_PreMulSum_f8e5m2_0_0_1v.private_seg_size, 16+max(.L_ZN12_GLOBAL__N_17runRingI14__hip_fp8_e5m213FuncPreMulSumIS1_E7ProtoLLLi0ELi1ELi0EEEviiP15ncclDevWorkColl.private_seg_size)
	.set .L_Z56ncclDevFunc_ReduceScatter_RING_LL_PreMulSum_f8e5m2_0_0_1v.uses_vcc, or(1, .L_ZN12_GLOBAL__N_17runRingI14__hip_fp8_e5m213FuncPreMulSumIS1_E7ProtoLLLi0ELi1ELi0EEEviiP15ncclDevWorkColl.uses_vcc)
	.set .L_Z56ncclDevFunc_ReduceScatter_RING_LL_PreMulSum_f8e5m2_0_0_1v.uses_flat_scratch, or(0, .L_ZN12_GLOBAL__N_17runRingI14__hip_fp8_e5m213FuncPreMulSumIS1_E7ProtoLLLi0ELi1ELi0EEEviiP15ncclDevWorkColl.uses_flat_scratch)
	.set .L_Z56ncclDevFunc_ReduceScatter_RING_LL_PreMulSum_f8e5m2_0_0_1v.has_dyn_sized_stack, or(0, .L_ZN12_GLOBAL__N_17runRingI14__hip_fp8_e5m213FuncPreMulSumIS1_E7ProtoLLLi0ELi1ELi0EEEviiP15ncclDevWorkColl.has_dyn_sized_stack)
	.set .L_Z56ncclDevFunc_ReduceScatter_RING_LL_PreMulSum_f8e5m2_0_0_1v.has_recursion, or(1, .L_ZN12_GLOBAL__N_17runRingI14__hip_fp8_e5m213FuncPreMulSumIS1_E7ProtoLLLi0ELi1ELi0EEEviiP15ncclDevWorkColl.has_recursion)
	.set .L_Z56ncclDevFunc_ReduceScatter_RING_LL_PreMulSum_f8e5m2_0_0_1v.has_indirect_call, or(0, .L_ZN12_GLOBAL__N_17runRingI14__hip_fp8_e5m213FuncPreMulSumIS1_E7ProtoLLLi0ELi1ELi0EEEviiP15ncclDevWorkColl.has_indirect_call)
	.section	.AMDGPU.csdata,"",@progbits
; Function info:
; codeLenInByte = 684
; TotalNumSgprs: 59
; NumVgprs: 120
; ScratchSize: 132
; MemoryBound: 0
	.text
	.p2align	2                               ; -- Begin function _ZN12_GLOBAL__N_17runRingI14__hip_fp8_e5m213FuncPreMulSumIS1_E7ProtoLLLi0ELi2ELi0EEEviiP15ncclDevWorkColl
	.type	_ZN12_GLOBAL__N_17runRingI14__hip_fp8_e5m213FuncPreMulSumIS1_E7ProtoLLLi0ELi2ELi0EEEviiP15ncclDevWorkColl,@function
_ZN12_GLOBAL__N_17runRingI14__hip_fp8_e5m213FuncPreMulSumIS1_E7ProtoLLLi0ELi2ELi0EEEviiP15ncclDevWorkColl: ; @_ZN12_GLOBAL__N_17runRingI14__hip_fp8_e5m213FuncPreMulSumIS1_E7ProtoLLLi0ELi2ELi0EEEviiP15ncclDevWorkColl
; %bb.0:
	s_wait_loadcnt_dscnt 0x0
	s_wait_kmcnt 0x0
	s_clause 0x1b
	scratch_store_b32 off, v40, s32 offset:108
	; meta instruction
	scratch_store_b32 off, v41, s32 offset:104
	; meta instruction
	;; [unrolled: 2-line block ×27, first 2 shown]
	scratch_store_b32 off, v91, s32
	s_trap 2
	s_clause 0x2
	flat_load_b32 v12, v[2:3]
	flat_load_b128 v[4:7], v[2:3] offset:72
	flat_load_b64 v[66:67], v[2:3] offset:88
	v_mov_b32_e32 v20, v1
	ds_load_b32 v8, v0
	ds_load_b64 v[22:23], v0
	s_mov_b32 s0, exec_lo
                                        ; implicit-def: $vgpr64_vgpr65
                                        ; implicit-def: $vgpr24_vgpr25
	s_wait_dscnt 0x1
	v_readfirstlane_b32 s10, v8
	s_wait_loadcnt 0x2
	v_bfe_u32 v9, v12, 8, 8
	v_bitop3_b32 v1, v12, 0xff, v12 bitop3:0x3f
	s_delay_alu instid0(VALU_DEP_1) | instskip(NEXT) | instid1(VALU_DEP_1)
	v_add_nc_u32_e32 v10, v9, v1
	v_ashrrev_i32_e32 v11, 31, v10
	s_wait_loadcnt 0x1
	s_delay_alu instid0(VALU_DEP_1) | instskip(SKIP_2) | instid1(VALU_DEP_1)
	v_mul_u64_e32 v[18:19], v[6:7], v[10:11]
	v_and_b32_e32 v10, 0xff, v12
	s_wait_xcnt 0x0
	v_cmpx_ne_u32_e64 v8, v10
	s_xor_b32 s0, exec_lo, s0
	s_cbranch_execz .LBB2_6
; %bb.1:
	s_mov_b32 s1, exec_lo
                                        ; implicit-def: $vgpr64_vgpr65
                                        ; implicit-def: $vgpr24_vgpr25
	v_cmpx_ne_u32_e64 v8, v9
	s_xor_b32 s1, exec_lo, s1
	s_cbranch_execz .LBB2_3
; %bb.2:
	flat_load_b64 v[10:11], v[2:3] offset:96
	v_add_nc_u32_e32 v1, v8, v1
	s_delay_alu instid0(VALU_DEP_1) | instskip(NEXT) | instid1(VALU_DEP_1)
	v_mad_nc_u64_u32 v[24:25], v6, v1, v[4:5]
	v_mad_u32 v8, v7, v1, v25
	v_ashrrev_i32_e32 v1, 31, v1
	s_delay_alu instid0(VALU_DEP_1)
	v_mad_u32 v25, v6, v1, v8
	s_wait_loadcnt_dscnt 0x0
	v_lshrrev_b64 v[64:65], 17, v[10:11]
.LBB2_3:
	s_wait_xcnt 0x0
	s_and_not1_saveexec_b32 s1, s1
	s_cbranch_execz .LBB2_5
; %bb.4:
	flat_load_b32 v1, v[2:3] offset:100
	v_add_nc_u64_e32 v[24:25], v[18:19], v[4:5]
	s_wait_loadcnt 0x1
	v_mov_b64_e32 v[6:7], v[66:67]
	s_wait_loadcnt_dscnt 0x0
	v_lshrrev_b32_e32 v64, 6, v1
.LBB2_5:
	s_wait_xcnt 0x0
	s_or_b32 exec_lo, exec_lo, s1
.LBB2_6:
	s_and_not1_saveexec_b32 s0, s0
	s_cbranch_execz .LBB2_8
; %bb.7:
	flat_load_b64 v[6:7], v[2:3] offset:96
	v_mov_b64_e32 v[24:25], 0
	s_wait_loadcnt_dscnt 0x0
	v_lshlrev_b64_e32 v[64:65], 4, v[6:7]
	v_mov_b64_e32 v[6:7], v[4:5]
.LBB2_8:
	s_wait_xcnt 0x0
	s_or_b32 exec_lo, exec_lo, s0
	s_clause 0x3
	flat_load_b64 v[14:15], v[2:3] offset:104
	flat_load_b128 v[8:11], v[2:3] offset:16
	flat_load_u16 v13, v[2:3] offset:8
	flat_load_b32 v12, v[2:3] offset:4
	v_dual_mov_b32 v1, 0 :: v_dual_mov_b32 v56, 0
	s_mov_b32 s1, 0
	s_mov_b32 s0, exec_lo
	s_wait_loadcnt_dscnt 0x303
	s_wait_xcnt 0x0
	v_and_b32_e32 v2, 0xff, v14
	s_delay_alu instid0(VALU_DEP_1)
	v_cmpx_ne_u16_e32 0, v2
	s_cbranch_execz .LBB2_18
; %bb.9:
	v_bfe_i32 v2, v14, 0, 8
	v_bfrev_b32_e32 v56, 1
	s_mov_b32 s2, exec_lo
	s_delay_alu instid0(VALU_DEP_2)
	v_cmpx_ne_u16_e32 0xff80, v2
	s_cbranch_execz .LBB2_17
; %bb.10:
	v_and_b32_e32 v16, 0x7c, v14
	v_and_b32_e32 v3, 3, v14
	s_mov_b32 s3, exec_lo
                                        ; implicit-def: $vgpr56
	s_delay_alu instid0(VALU_DEP_2)
	v_cmpx_ne_u32_e32 0x7c, v16
	s_xor_b32 s3, exec_lo, s3
	s_cbranch_execz .LBB2_14
; %bb.11:
	v_bfe_u32 v16, v14, 2, 5
	s_mov_b32 s4, exec_lo
	s_delay_alu instid0(VALU_DEP_1)
	v_cmpx_eq_u32_e32 0, v16
; %bb.12:
	v_clz_i32_u32_e32 v3, v3
	s_delay_alu instid0(VALU_DEP_1) | instskip(NEXT) | instid1(VALU_DEP_1)
	v_min_u32_e32 v3, 32, v3
	v_subrev_nc_u32_e32 v16, 29, v3
	s_delay_alu instid0(VALU_DEP_1) | instskip(NEXT) | instid1(VALU_DEP_1)
	v_lshlrev_b64_e32 v[14:15], v16, v[14:15]
	v_dual_sub_nc_u32 v16, 30, v3 :: v_dual_bitop2_b32 v3, 3, v14 bitop3:0x40
; %bb.13:
	s_or_b32 exec_lo, exec_lo, s4
	v_bfe_i32 v2, v2, 0, 16
	s_delay_alu instid0(VALU_DEP_1) | instskip(NEXT) | instid1(VALU_DEP_1)
	v_and_b32_e32 v2, 0x80000000, v2
	v_lshl_add_u32 v2, v16, 23, v2
	s_delay_alu instid0(VALU_DEP_1) | instskip(NEXT) | instid1(VALU_DEP_1)
	v_lshl_or_b32 v2, v3, 21, v2
                                        ; implicit-def: $vgpr3
	v_add_nc_u32_e32 v56, 0x38000000, v2
                                        ; implicit-def: $vgpr2
.LBB2_14:
	s_and_not1_saveexec_b32 s3, s3
; %bb.15:
	v_mov_b32_e32 v14, 0x7f800000
	v_cmp_lt_i16_e32 vcc_lo, -1, v2
	s_delay_alu instid0(VALU_DEP_2) | instskip(SKIP_1) | instid1(VALU_DEP_2)
	v_cndmask_b32_e32 v2, 0xff800000, v14, vcc_lo
	v_cmp_eq_u32_e32 vcc_lo, 0, v3
	v_cndmask_b32_e32 v56, 0x7f800001, v2, vcc_lo
; %bb.16:
	s_or_b32 exec_lo, exec_lo, s3
.LBB2_17:
	s_delay_alu instid0(SALU_CYCLE_1)
	s_or_b32 exec_lo, exec_lo, s2
.LBB2_18:
	s_delay_alu instid0(SALU_CYCLE_1)
	s_or_b32 exec_lo, exec_lo, s0
	s_load_b32 s0, s[8:9], 0x0
	s_bfe_u32 s2, ttmp6, 0x4000c
	s_and_b32 s3, ttmp6, 15
	s_add_co_i32 s2, s2, 1
	s_getreg_b32 s4, hwreg(HW_REG_IB_STS2, 6, 4)
	s_mul_i32 s2, ttmp9, s2
	s_wait_loadcnt_dscnt 0x0
	v_lshrrev_b64 v[14:15], 31, v[12:13]
	s_add_co_i32 s3, s3, s2
	s_cmp_eq_u32 s4, 0
	v_and_b32_e32 v12, 31, v0
	s_cselect_b32 s2, ttmp9, s3
	v_mov_b64_e32 v[26:27], 0
	s_delay_alu instid0(VALU_DEP_3) | instskip(NEXT) | instid1(VALU_DEP_1)
	v_and_b32_e32 v3, 3, v14
	v_and_b32_e32 v13, 0xffff, v3
	s_wait_kmcnt 0x0
	s_cmp_lt_u32 s2, s0
	s_cselect_b32 s0, 12, 18
	s_delay_alu instid0(SALU_CYCLE_1)
	s_add_nc_u64 s[2:3], s[8:9], s[0:1]
	v_cmp_eq_u32_e64 s0, 0, v12
	global_load_u16 v1, v1, s[2:3]
	s_trap 2
	ds_load_b32 v2, v0
	s_wait_dscnt 0x0
	v_cmp_gt_i32_e32 vcc_lo, 0, v2
	s_wait_xcnt 0x0
	v_readfirstlane_b32 s2, v2
	s_cbranch_vccnz .LBB2_20
; %bb.19:
	s_trap 2
	ds_load_b64 v[14:15], v0
	s_mov_b32 s1, 1
	s_wait_dscnt 0x0
	v_readfirstlane_b32 s4, v14
	v_readfirstlane_b32 s5, v15
	flat_load_b64 v[2:3], v2, s[4:5] scale_offset
	s_wait_loadcnt_dscnt 0x0
	v_mad_nc_u64_u32 v[2:3], 0xa8, v13, v[2:3]
	s_clause 0x1
	flat_load_b64 v[32:33], v[2:3] offset:504
	flat_load_b64 v[34:35], v[2:3] offset:608
	v_add_nc_u64_e32 v[28:29], 0x1f8, v[2:3]
	s_wait_xcnt 0x0
	s_delay_alu instid0(VALU_DEP_1)
	v_dual_cndmask_b32 v3, 0, v29, s0 :: v_dual_cndmask_b32 v2, 0, v28, s0
	s_branch .LBB2_21
.LBB2_20:
	v_mov_b64_e32 v[28:29], 0
	v_mov_b64_e32 v[2:3], 0
                                        ; implicit-def: $vgpr34_vgpr35
                                        ; implicit-def: $vgpr32_vgpr33
.LBB2_21:
	s_trap 2
	ds_load_b32 v14, v0
	s_wait_dscnt 0x0
	v_cmp_gt_i32_e32 vcc_lo, 0, v14
	s_cbranch_vccnz .LBB2_23
; %bb.22:
	s_trap 2
	ds_load_b64 v[16:17], v0
	v_cmp_eq_u32_e32 vcc_lo, 0, v12
	s_wait_dscnt 0x0
	v_readfirstlane_b32 s4, v16
	v_readfirstlane_b32 s5, v17
	flat_load_b64 v[14:15], v14, s[4:5] scale_offset
	s_wait_loadcnt_dscnt 0x0
	v_mad_nc_u64_u32 v[26:27], 0xa8, v13, v[14:15]
	s_clause 0x1
	flat_load_b64 v[36:37], v[26:27]
	flat_load_b64 v[16:17], v[26:27] offset:104
	v_dual_cndmask_b32 v53, 0, v27 :: v_dual_cndmask_b32 v52, 0, v26
	s_branch .LBB2_24
.LBB2_23:
	v_mov_b64_e32 v[52:53], 0
                                        ; implicit-def: $vgpr16_vgpr17
                                        ; implicit-def: $vgpr36_vgpr37
.LBB2_24:
	s_wait_xcnt 0x2
	v_subrev_nc_u32_e32 v14, 32, v20
	v_cmp_gt_u32_e32 vcc_lo, s1, v12
	v_mov_b64_e32 v[12:13], 0
	v_mov_b64_e32 v[48:49], 0
                                        ; implicit-def: $vgpr38_vgpr39
	s_delay_alu instid0(VALU_DEP_4)
	v_cmp_ge_i32_e64 s0, v0, v14
	s_and_b32 s9, s0, vcc_lo
	s_wait_xcnt 0x0
	s_and_saveexec_b32 s0, s9
	s_cbranch_execz .LBB2_26
; %bb.25:
	s_clause 0x1
	flat_load_b64 v[48:49], v[2:3] offset:56
	flat_load_b64 v[38:39], v[2:3] offset:104
.LBB2_26:
	s_wait_xcnt 0x0
	s_or_b32 exec_lo, exec_lo, s0
	v_mov_b64_e32 v[50:51], 0
	v_cmp_gt_u32_e64 s0, s1, v0
                                        ; implicit-def: $vgpr54_vgpr55
	s_and_saveexec_b32 s1, s0
	s_cbranch_execz .LBB2_28
; %bb.27:
	flat_load_b64 v[50:51], v[52:53] offset:56
	s_wait_loadcnt_dscnt 0x0
	flat_load_b64 v[54:55], v[50:51] scope:SCOPE_SYS
	s_wait_loadcnt 0x0
	flat_load_b128 v[12:15], v[52:53] offset:96
.LBB2_28:
	s_wait_xcnt 0x0
	s_or_b32 exec_lo, exec_lo, s1
	v_mov_b64_e32 v[52:53], 0
	s_wait_loadcnt 0x0
	v_and_b32_e32 v57, 0xffff, v1
	s_mov_b32 s14, exec_lo
	v_cmpx_ne_u64_e32 0, v[6:7]
	s_cbranch_execnz .LBB2_44
; %bb.29:
	s_or_b32 exec_lo, exec_lo, s14
	s_and_saveexec_b32 s1, s9
	s_cbranch_execnz .LBB2_1594
.LBB2_30:
	s_or_b32 exec_lo, exec_lo, s1
	s_and_saveexec_b32 s1, s0
	s_cbranch_execz .LBB2_32
.LBB2_31:
	s_wait_dscnt 0x0
	flat_store_b64 v[26:27], v[14:15] offset:104
.LBB2_32:
	s_wait_xcnt 0x0
	s_or_b32 exec_lo, exec_lo, s1
	s_delay_alu instid0(SALU_CYCLE_1)
	s_mov_b32 s0, exec_lo
	v_cmpx_ne_u32_e32 32, v20
	s_cbranch_execz .LBB2_1601
; %bb.33:
	s_mov_b32 s1, exec_lo
	v_cmpx_ne_u32_e64 v20, v57
	s_xor_b32 s1, exec_lo, s1
	s_cbranch_execz .LBB2_1599
; %bb.34:
	v_and_b32_e32 v0, 31, v31
	s_mov_b32 s2, exec_lo
	s_delay_alu instid0(VALU_DEP_1)
	v_cmpx_eq_u32_e32 0, v0
	s_cbranch_execz .LBB2_1598
; %bb.35:
	s_mov_b32 s4, exec_lo
	s_mov_b32 s3, exec_lo
	v_mbcnt_lo_u32_b32 v0, s4, 0
	global_wb scope:SCOPE_DEV
	s_wait_storecnt 0x0
	s_wait_loadcnt_dscnt 0x0
	global_inv scope:SCOPE_DEV
	v_cmpx_eq_u32_e32 0, v0
	s_cbranch_execz .LBB2_37
; %bb.36:
	s_bcnt1_i32_b32 s4, s4
	s_delay_alu instid0(SALU_CYCLE_1)
	v_dual_mov_b32 v1, 0 :: v_dual_mov_b32 v0, s4
	s_wait_loadcnt 0x0
	ds_add_u64 v0, v[0:1]
	s_trap 2
.LBB2_37:
	s_or_b32 exec_lo, exec_lo, s3
	s_trap 2
	ds_load_b64 v[2:3], v0
	s_wait_dscnt 0x0
	v_dual_mov_b32 v1, 0 :: v_dual_lshrrev_b32 v0, 5, v20
	s_mov_b32 s3, exec_lo
	s_delay_alu instid0(VALU_DEP_1) | instskip(NEXT) | instid1(VALU_DEP_1)
	v_add_nc_u64_e32 v[0:1], v[52:53], v[0:1]
	v_cmpx_lt_u64_e64 v[2:3], v[0:1]
	s_cbranch_execz .LBB2_1597
; %bb.38:
	s_mov_b32 s4, 0
	s_mov_b32 s7, 0
                                        ; implicit-def: $sgpr5
                                        ; implicit-def: $sgpr6
	s_branch .LBB2_40
.LBB2_39:                               ;   in Loop: Header=BB2_40 Depth=1
	s_or_b32 exec_lo, exec_lo, s9
	s_delay_alu instid0(SALU_CYCLE_1) | instskip(NEXT) | instid1(SALU_CYCLE_1)
	s_and_b32 s8, exec_lo, s10
	s_or_b32 s4, s8, s4
	s_and_not1_b32 s5, s5, exec_lo
	s_and_b32 s8, s6, exec_lo
	s_delay_alu instid0(SALU_CYCLE_1)
	s_or_b32 s5, s5, s8
	s_and_not1_b32 exec_lo, exec_lo, s4
	s_cbranch_execz .LBB2_1595
.LBB2_40:                               ; =>This Inner Loop Header: Depth=1
	s_add_co_i32 s7, s7, 1
	s_delay_alu instid0(SALU_CYCLE_1) | instskip(SKIP_1) | instid1(SALU_CYCLE_1)
	s_cmp_lg_u32 s7, 0x2710
	s_cselect_b32 s8, -1, 0
	s_and_b32 vcc_lo, exec_lo, s8
	s_cbranch_vccz .LBB2_42
; %bb.41:                               ;   in Loop: Header=BB2_40 Depth=1
	s_mov_b32 s10, -1
	s_or_b32 s6, s6, exec_lo
	s_and_saveexec_b32 s9, s8
	s_cbranch_execz .LBB2_39
	s_branch .LBB2_43
.LBB2_42:                               ;   in Loop: Header=BB2_40 Depth=1
	s_trap 2
	ds_load_b64 v[2:3], v0
	s_and_not1_b32 s8, s8, exec_lo
	s_mov_b32 s7, 0
	s_wait_loadcnt_dscnt 0x0
	flat_load_b32 v2, v[2:3] scope:SCOPE_SYS
	s_wait_loadcnt_dscnt 0x0
	global_inv scope:SCOPE_SYS
	v_cmp_eq_u32_e32 vcc_lo, 0, v2
	s_and_b32 s9, vcc_lo, exec_lo
	s_delay_alu instid0(SALU_CYCLE_1)
	s_or_b32 s8, s8, s9
	s_mov_b32 s10, -1
	s_or_b32 s6, s6, exec_lo
	s_and_saveexec_b32 s9, s8
	s_cbranch_execz .LBB2_39
.LBB2_43:                               ;   in Loop: Header=BB2_40 Depth=1
	s_sleep 1
	s_trap 2
	ds_load_b64 v[2:3], v0
	s_wait_dscnt 0x0
	s_and_not1_b32 s6, s6, exec_lo
	v_cmp_ge_u64_e32 vcc_lo, v[2:3], v[0:1]
	s_or_not1_b32 s10, vcc_lo, exec_lo
	s_branch .LBB2_39
.LBB2_44:
	v_add_nc_u64_e32 v[2:3], v[66:67], v[4:5]
	v_dual_mov_b32 v65, 0 :: v_dual_bitop2_b32 v1, 31, v31 bitop3:0x40
	s_ashr_i32 s1, s2, 31
	v_lshlrev_b32_e32 v84, 3, v0
	s_lshr_b32 s1, s1, 29
	s_delay_alu instid0(VALU_DEP_2) | instskip(NEXT) | instid1(VALU_DEP_4)
	v_mov_b32_e32 v85, v65
	v_add_nc_u64_e32 v[68:69], v[2:3], v[18:19]
	v_add_nc_u64_e32 v[2:3], v[24:25], v[10:11]
	v_dual_mov_b32 v21, v65 :: v_dual_lshlrev_b32 v58, 6, v20
	s_add_co_i32 s2, s2, s1
	s_ashr_i32 s11, s10, 31
	v_cmp_eq_u32_e64 s5, 0, v1
	v_dual_mov_b32 v87, v65 :: v_dual_mov_b32 v1, v65
	s_ashr_i32 s4, s2, 3
	s_ashr_i32 s15, s2, 7
	s_lshl_b64 s[2:3], s[10:11], 2
	v_mov_b64_e32 v[80:81], 0
	v_add_nc_u64_e32 v[70:71], s[2:3], v[22:23]
	v_cmp_ne_u64_e64 s1, 0, v[50:51]
	s_wait_dscnt 0x0
	v_cmp_ne_u64_e64 s2, 0, v[12:13]
	v_add_nc_u64_e32 v[96:97], v[10:11], v[84:85]
	v_cmp_ne_u64_e64 s6, 0, v[48:49]
	v_add_nc_u64_e32 v[8:9], v[8:9], v[84:85]
	v_add_nc_u64_e32 v[98:99], v[2:3], v[84:85]
	v_lshlrev_b64_e32 v[102:103], 4, v[20:21]
	v_mov_b64_e32 v[52:53], 0
	v_and_b32_e32 v66, 0x1fffff0, v64
	v_dual_mov_b32 v67, v65 :: v_dual_lshrrev_b32 v82, 5, v20
	s_and_b32 s11, s4, -16
	v_cmp_ne_u32_e64 s3, 32, v20
	v_cmp_ne_u32_e64 s4, v20, v57
	v_dual_mov_b32 v83, v65 :: v_dual_lshlrev_b32 v86, 3, v20
	v_lshl_add_u64 v[100:101], v[0:1], 4, v[36:37]
	v_dual_mov_b32 v1, 1 :: v_dual_mov_b32 v60, 0
	v_mov_b32_e32 v21, 0x7f800000
	v_mov_b32_e32 v59, 0x7c
	s_cmp_gt_i32 s10, 2
	s_mov_b64 s[12:13], 0xffffffffffffff
	s_mov_b32 s16, 0
	s_cselect_b32 s17, -1, 0
	s_branch .LBB2_46
.LBB2_45:                               ;   in Loop: Header=BB2_46 Depth=1
	s_wait_xcnt 0x0
	s_or_b32 exec_lo, exec_lo, s7
	v_add_nc_u64_e32 v[80:81], v[80:81], v[66:67]
	v_add_nc_u64_e32 v[34:35], 1, v[34:35]
	;; [unrolled: 1-line block ×3, first 2 shown]
	s_delay_alu instid0(VALU_DEP_3) | instskip(SKIP_1) | instid1(SALU_CYCLE_1)
	v_cmp_ge_u64_e32 vcc_lo, v[80:81], v[6:7]
	s_or_b32 s16, vcc_lo, s16
	s_and_not1_b32 exec_lo, exec_lo, s16
	s_cbranch_execz .LBB2_1593
.LBB2_46:                               ; =>This Loop Header: Depth=1
                                        ;     Child Loop BB2_51 Depth 2
                                        ;     Child Loop BB2_70 Depth 2
	;; [unrolled: 1-line block ×5, first 2 shown]
                                        ;       Child Loop BB2_340 Depth 3
                                        ;       Child Loop BB2_359 Depth 3
	;; [unrolled: 1-line block ×3, first 2 shown]
                                        ;         Child Loop BB2_388 Depth 4
                                        ;       Child Loop BB2_963 Depth 3
                                        ;       Child Loop BB2_376 Depth 3
                                        ;     Child Loop BB2_979 Depth 2
                                        ;       Child Loop BB2_987 Depth 3
                                        ;     Child Loop BB2_1581 Depth 2
	flat_load_b32 v114, v[70:71] offset:-4
	v_sub_nc_u64_e32 v[2:3], v[6:7], v[80:81]
	s_delay_alu instid0(VALU_DEP_1) | instskip(NEXT) | instid1(VALU_DEP_1)
	v_min_u64 v[2:3], v[66:67], v[2:3]
	v_lshl_add_u32 v3, v2, 1, 14
	s_delay_alu instid0(VALU_DEP_1)
	v_and_b32_e32 v30, 0x7fffff0, v3
	s_wait_xcnt 0x0
	s_and_saveexec_b32 s8, s1
	s_cbranch_execz .LBB2_62
; %bb.47:                               ;   in Loop: Header=BB2_46 Depth=1
	v_add_nc_u64_e32 v[4:5], 1, v[14:15]
	v_add_nc_u64_e32 v[18:19], 8, v[54:55]
	s_mov_b32 s18, exec_lo
	s_delay_alu instid0(VALU_DEP_1)
	v_cmpx_lt_u64_e64 v[18:19], v[4:5]
	s_cbranch_execz .LBB2_59
; %bb.48:                               ;   in Loop: Header=BB2_46 Depth=1
	s_mov_b32 s19, 0
	s_mov_b32 s23, 0
	v_cmp_eq_u32_e32 vcc_lo, 0, v60
                                        ; implicit-def: $sgpr20
                                        ; implicit-def: $sgpr21
                                        ; implicit-def: $sgpr22
	s_branch .LBB2_51
.LBB2_49:                               ;   in Loop: Header=BB2_51 Depth=2
	s_or_b32 exec_lo, exec_lo, s28
	s_delay_alu instid0(SALU_CYCLE_1)
	s_and_not1_b32 s7, s22, exec_lo
	s_and_b32 s22, s26, exec_lo
	s_and_not1_b32 s21, s21, exec_lo
	s_and_b32 s25, s25, exec_lo
	s_or_b32 s22, s7, s22
	s_or_b32 s21, s21, s25
.LBB2_50:                               ;   in Loop: Header=BB2_51 Depth=2
	s_or_b32 exec_lo, exec_lo, s24
	s_delay_alu instid0(SALU_CYCLE_1) | instskip(NEXT) | instid1(SALU_CYCLE_1)
	s_and_b32 s7, exec_lo, s21
	s_or_b32 s19, s7, s19
	s_and_not1_b32 s7, s20, exec_lo
	s_and_b32 s20, s22, exec_lo
	s_delay_alu instid0(SALU_CYCLE_1)
	s_or_b32 s20, s7, s20
	s_and_not1_b32 exec_lo, exec_lo, s19
	s_cbranch_execz .LBB2_56
.LBB2_51:                               ;   Parent Loop BB2_46 Depth=1
                                        ; =>  This Inner Loop Header: Depth=2
	s_sleep 1
	s_wait_loadcnt_dscnt 0x0
	flat_load_b64 v[54:55], v[50:51] scope:SCOPE_DEV
	v_mov_b32_e32 v60, 1
	s_or_b32 s22, s22, exec_lo
	s_or_b32 s21, s21, exec_lo
                                        ; implicit-def: $vgpr3
	s_wait_xcnt 0x0
	s_and_saveexec_b32 s24, vcc_lo
	s_cbranch_execz .LBB2_50
; %bb.52:                               ;   in Loop: Header=BB2_51 Depth=2
	s_add_co_i32 s23, s23, 1
	s_mov_b32 s25, -1
	s_cmp_lg_u32 s23, 0x2710
	s_mov_b32 s26, -1
	s_cselect_b32 s27, -1, 0
	s_cmp_eq_u32 s23, 0x2710
                                        ; implicit-def: $vgpr3
	s_cbranch_scc1 .LBB2_54
; %bb.53:                               ;   in Loop: Header=BB2_51 Depth=2
	v_mov_b32_e32 v60, 1
	s_and_saveexec_b32 s28, s27
	s_cbranch_execz .LBB2_49
	s_branch .LBB2_55
.LBB2_54:                               ;   in Loop: Header=BB2_51 Depth=2
	s_trap 2
	ds_load_b64 v[18:19], v0
	s_and_not1_b32 s23, s27, exec_lo
	s_mov_b32 s26, 0
	s_wait_storecnt 0x0
	s_wait_loadcnt_dscnt 0x0
	flat_load_b32 v3, v[18:19] scope:SCOPE_SYS
	s_wait_loadcnt_dscnt 0x0
	global_inv scope:SCOPE_SYS
	v_cmp_eq_u32_e64 s7, 0, v3
	s_and_b32 s7, s7, exec_lo
	s_delay_alu instid0(SALU_CYCLE_1)
	s_or_b32 s27, s23, s7
	s_mov_b32 s23, 0
	v_mov_b32_e32 v60, 1
	s_and_saveexec_b32 s28, s27
	s_cbranch_execz .LBB2_49
.LBB2_55:                               ;   in Loop: Header=BB2_51 Depth=2
	s_wait_loadcnt_dscnt 0x0
	v_add_nc_u64_e32 v[18:19], 8, v[54:55]
	v_mov_b32_e32 v60, 0
	s_or_b32 s26, s26, exec_lo
	s_delay_alu instid0(VALU_DEP_2)
	v_cmp_ge_u64_e64 s7, v[18:19], v[4:5]
	s_or_not1_b32 s25, s7, exec_lo
	s_branch .LBB2_49
.LBB2_56:                               ;   in Loop: Header=BB2_46 Depth=1
	s_or_b32 exec_lo, exec_lo, s19
	s_xor_b32 s7, s20, -1
	s_delay_alu instid0(SALU_CYCLE_1) | instskip(NEXT) | instid1(SALU_CYCLE_1)
	s_and_saveexec_b32 s19, s7
	s_xor_b32 s7, exec_lo, s19
	s_cbranch_execz .LBB2_58
; %bb.57:                               ;   in Loop: Header=BB2_46 Depth=1
	v_mov_b32_e32 v60, 1
	s_wait_storecnt 0x0
	s_wait_loadcnt_dscnt 0x0
	ds_store_b32 v0, v3
	s_trap 2
.LBB2_58:                               ;   in Loop: Header=BB2_46 Depth=1
	s_or_b32 exec_lo, exec_lo, s7
.LBB2_59:                               ;   in Loop: Header=BB2_46 Depth=1
	s_delay_alu instid0(SALU_CYCLE_1)
	s_or_b32 exec_lo, exec_lo, s18
	s_and_saveexec_b32 s7, s2
	s_cbranch_execz .LBB2_61
; %bb.60:                               ;   in Loop: Header=BB2_46 Depth=1
	v_and_b32_e32 v64, 0x7ffffff8, v14
	v_and_b32_e32 v3, 7, v14
	s_delay_alu instid0(VALU_DEP_2) | instskip(NEXT) | instid1(VALU_DEP_2)
	v_cmp_eq_u64_e32 vcc_lo, 0x7ffffff8, v[64:65]
	v_mad_nc_u64_u32 v[14:15], v3, 24, v[12:13]
	v_cndmask_b32_e64 v18, v30, s11, vcc_lo
	s_delay_alu instid0(VALU_DEP_1)
	v_ashrrev_i32_e32 v19, 31, v18
	flat_store_b64 v[14:15], v[18:19] offset:8 scope:SCOPE_SYS
	s_wait_storecnt 0x0
.LBB2_61:                               ;   in Loop: Header=BB2_46 Depth=1
	s_wait_xcnt 0x0
	s_or_b32 exec_lo, exec_lo, s7
	v_mov_b64_e32 v[14:15], v[4:5]
.LBB2_62:                               ;   in Loop: Header=BB2_46 Depth=1
	s_or_b32 exec_lo, exec_lo, s8
	s_and_saveexec_b32 s7, s3
	s_cbranch_execz .LBB2_81
; %bb.63:                               ;   in Loop: Header=BB2_46 Depth=1
	s_and_saveexec_b32 s8, s4
	s_delay_alu instid0(SALU_CYCLE_1)
	s_xor_b32 s8, exec_lo, s8
	s_cbranch_execz .LBB2_78
; %bb.64:                               ;   in Loop: Header=BB2_46 Depth=1
	s_and_saveexec_b32 s18, s5
	s_cbranch_execz .LBB2_77
; %bb.65:                               ;   in Loop: Header=BB2_46 Depth=1
	s_mov_b32 s20, exec_lo
	s_mov_b32 s19, exec_lo
	v_mbcnt_lo_u32_b32 v3, s20, 0
	global_wb scope:SCOPE_DEV
	s_wait_storecnt 0x0
	s_wait_loadcnt_dscnt 0x0
	global_inv scope:SCOPE_DEV
	v_cmpx_eq_u32_e32 0, v3
	s_cbranch_execz .LBB2_67
; %bb.66:                               ;   in Loop: Header=BB2_46 Depth=1
	s_bcnt1_i32_b32 s20, s20
	s_delay_alu instid0(SALU_CYCLE_1)
	v_mov_b32_e32 v64, s20
	s_wait_loadcnt 0x0
	ds_add_u64 v0, v[64:65]
	s_trap 2
.LBB2_67:                               ;   in Loop: Header=BB2_46 Depth=1
	s_or_b32 exec_lo, exec_lo, s19
	s_trap 2
	ds_load_b64 v[4:5], v0
	s_wait_dscnt 0x0
	v_add_nc_u64_e32 v[52:53], v[52:53], v[82:83]
	s_mov_b32 s19, exec_lo
	s_delay_alu instid0(VALU_DEP_1)
	v_cmpx_lt_u64_e64 v[4:5], v[52:53]
	s_cbranch_execz .LBB2_76
; %bb.68:                               ;   in Loop: Header=BB2_46 Depth=1
	s_mov_b32 s20, 0
	s_mov_b32 s23, 0
                                        ; implicit-def: $sgpr21
                                        ; implicit-def: $sgpr22
	s_branch .LBB2_70
.LBB2_69:                               ;   in Loop: Header=BB2_70 Depth=2
	s_or_b32 exec_lo, exec_lo, s25
	s_delay_alu instid0(SALU_CYCLE_1) | instskip(NEXT) | instid1(SALU_CYCLE_1)
	s_and_b32 s24, exec_lo, s26
	s_or_b32 s20, s24, s20
	s_and_not1_b32 s21, s21, exec_lo
	s_and_b32 s24, s22, exec_lo
	s_delay_alu instid0(SALU_CYCLE_1)
	s_or_b32 s21, s21, s24
	s_and_not1_b32 exec_lo, exec_lo, s20
	s_cbranch_execz .LBB2_74
.LBB2_70:                               ;   Parent Loop BB2_46 Depth=1
                                        ; =>  This Inner Loop Header: Depth=2
	s_add_co_i32 s23, s23, 1
	s_delay_alu instid0(SALU_CYCLE_1) | instskip(SKIP_1) | instid1(SALU_CYCLE_1)
	s_cmp_lg_u32 s23, 0x2710
	s_cselect_b32 s24, -1, 0
	s_and_b32 vcc_lo, exec_lo, s24
	s_cbranch_vccz .LBB2_72
; %bb.71:                               ;   in Loop: Header=BB2_70 Depth=2
	s_mov_b32 s26, -1
	s_or_b32 s22, s22, exec_lo
	s_and_saveexec_b32 s25, s24
	s_cbranch_execz .LBB2_69
	s_branch .LBB2_73
.LBB2_72:                               ;   in Loop: Header=BB2_70 Depth=2
	s_trap 2
	ds_load_b64 v[4:5], v0
	s_and_not1_b32 s24, s24, exec_lo
	s_mov_b32 s23, 0
	s_wait_loadcnt_dscnt 0x0
	flat_load_b32 v3, v[4:5] scope:SCOPE_SYS
	s_wait_loadcnt_dscnt 0x0
	global_inv scope:SCOPE_SYS
	v_cmp_eq_u32_e32 vcc_lo, 0, v3
	s_and_b32 s25, vcc_lo, exec_lo
	s_delay_alu instid0(SALU_CYCLE_1)
	s_or_b32 s24, s24, s25
	s_mov_b32 s26, -1
	s_or_b32 s22, s22, exec_lo
	s_and_saveexec_b32 s25, s24
	s_cbranch_execz .LBB2_69
.LBB2_73:                               ;   in Loop: Header=BB2_70 Depth=2
	s_sleep 1
	s_trap 2
	ds_load_b64 v[4:5], v0
	s_wait_dscnt 0x0
	s_and_not1_b32 s22, s22, exec_lo
	v_cmp_ge_u64_e32 vcc_lo, v[4:5], v[52:53]
	s_or_not1_b32 s26, vcc_lo, exec_lo
	s_branch .LBB2_69
.LBB2_74:                               ;   in Loop: Header=BB2_46 Depth=1
	s_or_b32 exec_lo, exec_lo, s20
	s_and_saveexec_b32 s20, s21
	s_delay_alu instid0(SALU_CYCLE_1)
	s_xor_b32 s20, exec_lo, s20
	s_cbranch_execz .LBB2_76
; %bb.75:                               ;   in Loop: Header=BB2_46 Depth=1
	ds_store_b32 v0, v1
	s_trap 2
.LBB2_76:                               ;   in Loop: Header=BB2_46 Depth=1
	s_or_b32 exec_lo, exec_lo, s19
	;;#ASMSTART
	s_wakeup
	;;#ASMEND
.LBB2_77:                               ;   in Loop: Header=BB2_46 Depth=1
	s_or_b32 exec_lo, exec_lo, s18
.LBB2_78:                               ;   in Loop: Header=BB2_46 Depth=1
	s_and_not1_saveexec_b32 s8, s8
	s_cbranch_execz .LBB2_80
; %bb.79:                               ;   in Loop: Header=BB2_46 Depth=1
	global_wb scope:SCOPE_DEV
	s_wait_storecnt 0x0
	s_wait_loadcnt_dscnt 0x0
	global_inv scope:SCOPE_DEV
	s_barrier_signal -1
	s_barrier_wait -1
.LBB2_80:                               ;   in Loop: Header=BB2_46 Depth=1
	s_or_b32 exec_lo, exec_lo, s8
.LBB2_81:                               ;   in Loop: Header=BB2_46 Depth=1
	s_delay_alu instid0(SALU_CYCLE_1) | instskip(SKIP_2) | instid1(VALU_DEP_2)
	s_or_b32 exec_lo, exec_lo, s7
	v_dual_mov_b32 v18, v0 :: v_dual_sub_nc_u32 v61, v2, v84
	v_dual_add_nc_u32 v3, 1, v16 :: v_dual_bitop2_b32 v19, 7, v16 bitop3:0x40
	v_cmp_lt_i32_e64 s7, 0, v61
	s_and_saveexec_b32 s18, s7
	s_cbranch_execz .LBB2_329
; %bb.82:                               ;   in Loop: Header=BB2_46 Depth=1
	s_wait_loadcnt_dscnt 0x0
	v_mad_nc_u64_u32 v[112:113], v68, v114, v[98:99]
	v_mul_lo_u32 v4, v19, s15
	v_mul_lo_u32 v18, v68, v114
	v_dual_mov_b32 v119, v61 :: v_dual_ashrrev_i32 v64, 31, v114
	s_mov_b32 s19, 0
	s_delay_alu instid0(VALU_DEP_4) | instskip(NEXT) | instid1(VALU_DEP_4)
	v_mad_u32 v2, v69, v114, v113
	v_ashrrev_i32_e32 v5, 31, v4
	s_delay_alu instid0(VALU_DEP_4) | instskip(SKIP_1) | instid1(VALU_DEP_3)
	v_add_lshl_u32 v118, v98, v18, 3
	v_mov_b32_e32 v18, v0
	v_lshl_add_u64 v[114:115], v[4:5], 4, v[100:101]
	v_mad_u32 v113, v68, v64, v2
	s_branch .LBB2_85
.LBB2_83:                               ;   in Loop: Header=BB2_85 Depth=2
	s_or_b32 exec_lo, exec_lo, s20
.LBB2_84:                               ;   in Loop: Header=BB2_85 Depth=2
	s_delay_alu instid0(SALU_CYCLE_1) | instskip(SKIP_3) | instid1(VALU_DEP_3)
	s_or_b32 exec_lo, exec_lo, s8
	v_dual_lshlrev_b32 v2, 8, v41 :: v_dual_lshlrev_b32 v5, 16, v42
	v_dual_lshlrev_b32 v64, 8, v45 :: v_dual_lshlrev_b32 v116, 16, v46
	;; [unrolled: 1-line block ×3, first 2 shown]
	v_or3_b32 v2, v2, v40, v5
	v_dual_mov_b32 v5, v3 :: v_dual_add_nc_u32 v18, v18, v20
	s_delay_alu instid0(VALU_DEP_4) | instskip(SKIP_1) | instid1(VALU_DEP_4)
	v_or3_b32 v64, v64, v44, v116
	v_sub_nc_u32_e32 v119, v119, v86
	v_or3_b32 v2, v2, v117, 0
	v_add_nc_u64_e32 v[112:113], v[112:113], v[86:87]
	v_add_nc_u32_e32 v118, v118, v58
	v_or3_b32 v4, v64, v4, 0
	v_cmp_gt_i32_e32 vcc_lo, 1, v119
	global_store_b128 v[114:115], v[2:5], off
	s_wait_xcnt 0x0
	v_add_nc_u64_e32 v[114:115], v[114:115], v[102:103]
	s_or_b32 s19, vcc_lo, s19
	s_delay_alu instid0(SALU_CYCLE_1)
	s_and_not1_b32 exec_lo, exec_lo, s19
	s_cbranch_execz .LBB2_328
.LBB2_85:                               ;   Parent Loop BB2_46 Depth=1
                                        ; =>  This Inner Loop Header: Depth=2
	s_delay_alu instid0(VALU_DEP_1)
	v_dual_mov_b32 v5, v113 :: v_dual_bitop2_b32 v4, -4, v112 bitop3:0x40
	v_min_u32_e32 v64, 8, v119
	v_dual_mov_b32 v44, 0 :: v_dual_bitop2_b32 v116, 3, v112 bitop3:0x40
	v_mov_b32_e32 v45, 0
	global_load_b32 v2, v[4:5], off th:TH_LOAD_NT
	s_mov_b32 s8, exec_lo
	v_add_nc_u32_e32 v64, v116, v64
	s_wait_xcnt 0x0
	s_delay_alu instid0(VALU_DEP_1)
	v_cmpx_lt_u32_e32 4, v64
	s_cbranch_execz .LBB2_87
; %bb.86:                               ;   in Loop: Header=BB2_85 Depth=2
	global_load_b32 v45, v[4:5], off offset:4 th:TH_LOAD_NT
.LBB2_87:                               ;   in Loop: Header=BB2_85 Depth=2
	s_wait_xcnt 0x0
	s_or_b32 exec_lo, exec_lo, s8
	s_delay_alu instid0(SALU_CYCLE_1)
	s_mov_b32 s8, exec_lo
	v_cmpx_lt_u64_e32 8, v[64:65]
	s_cbranch_execz .LBB2_89
; %bb.88:                               ;   in Loop: Header=BB2_85 Depth=2
	global_load_b32 v44, v[4:5], off offset:8 th:TH_LOAD_NT
.LBB2_89:                               ;   in Loop: Header=BB2_85 Depth=2
	s_wait_xcnt 0x0
	s_or_b32 exec_lo, exec_lo, s8
	s_wait_loadcnt 0x0
	v_alignbit_b32 v64, v45, v2, v118
	s_delay_alu instid0(VALU_DEP_1) | instskip(NEXT) | instid1(VALU_DEP_1)
	v_and_b32_e32 v2, 0xff, v64
	v_cmp_ne_u16_e32 vcc_lo, 0, v2
	v_mov_b32_e32 v2, 0
	s_and_saveexec_b32 s8, vcc_lo
	s_cbranch_execz .LBB2_99
; %bb.90:                               ;   in Loop: Header=BB2_85 Depth=2
	v_bfe_i32 v5, v64, 0, 8
	v_bfrev_b32_e32 v2, 1
	s_mov_b32 s20, exec_lo
	s_delay_alu instid0(VALU_DEP_2)
	v_cmpx_ne_u16_e32 0xff80, v5
	s_cbranch_execz .LBB2_98
; %bb.91:                               ;   in Loop: Header=BB2_85 Depth=2
	v_and_b32_e32 v2, 0x7c, v64
	v_and_b32_e32 v4, 3, v64
	s_delay_alu instid0(VALU_DEP_2) | instskip(SKIP_1) | instid1(SALU_CYCLE_1)
	v_cmp_ne_u32_e32 vcc_lo, 0x7c, v2
                                        ; implicit-def: $vgpr2
	s_and_saveexec_b32 s21, vcc_lo
	s_xor_b32 s21, exec_lo, s21
	s_cbranch_execz .LBB2_95
; %bb.92:                               ;   in Loop: Header=BB2_85 Depth=2
	v_bfe_u32 v2, v64, 2, 5
	s_mov_b32 s22, exec_lo
	s_delay_alu instid0(VALU_DEP_1)
	v_cmpx_eq_u32_e32 0, v2
; %bb.93:                               ;   in Loop: Header=BB2_85 Depth=2
	v_clz_i32_u32_e32 v2, v4
	s_delay_alu instid0(VALU_DEP_1) | instskip(NEXT) | instid1(VALU_DEP_1)
	v_min_u32_e32 v2, 32, v2
	v_subrev_nc_u32_e32 v4, 29, v2
	s_delay_alu instid0(VALU_DEP_1) | instskip(NEXT) | instid1(VALU_DEP_1)
	v_lshlrev_b64_e32 v[4:5], v4, v[64:65]
	v_dual_sub_nc_u32 v2, 30, v2 :: v_dual_bitop2_b32 v4, 3, v4 bitop3:0x40
; %bb.94:                               ;   in Loop: Header=BB2_85 Depth=2
	s_or_b32 exec_lo, exec_lo, s22
	v_lshlrev_b32_e32 v5, 24, v64
	s_delay_alu instid0(VALU_DEP_1) | instskip(NEXT) | instid1(VALU_DEP_1)
	v_and_b32_e32 v5, 0x80000000, v5
	v_lshl_add_u32 v2, v2, 23, v5
                                        ; implicit-def: $vgpr5
	s_delay_alu instid0(VALU_DEP_1) | instskip(NEXT) | instid1(VALU_DEP_1)
	v_lshl_or_b32 v2, v4, 21, v2
                                        ; implicit-def: $vgpr4
	v_add_nc_u32_e32 v2, 0x38000000, v2
.LBB2_95:                               ;   in Loop: Header=BB2_85 Depth=2
	s_and_not1_saveexec_b32 s21, s21
; %bb.96:                               ;   in Loop: Header=BB2_85 Depth=2
	v_cmp_lt_i16_e32 vcc_lo, -1, v5
	v_cndmask_b32_e32 v2, 0xff800000, v21, vcc_lo
	v_cmp_eq_u32_e32 vcc_lo, 0, v4
	s_delay_alu instid0(VALU_DEP_2)
	v_cndmask_b32_e32 v2, 0x7f800001, v2, vcc_lo
; %bb.97:                               ;   in Loop: Header=BB2_85 Depth=2
	s_or_b32 exec_lo, exec_lo, s21
.LBB2_98:                               ;   in Loop: Header=BB2_85 Depth=2
	s_delay_alu instid0(SALU_CYCLE_1)
	s_or_b32 exec_lo, exec_lo, s20
.LBB2_99:                               ;   in Loop: Header=BB2_85 Depth=2
	s_delay_alu instid0(SALU_CYCLE_1) | instskip(NEXT) | instid1(VALU_DEP_1)
	s_or_b32 exec_lo, exec_lo, s8
	v_dual_mul_f32 v116, v56, v2 :: v_dual_mov_b32 v41, v65
	s_delay_alu instid0(VALU_DEP_1) | instskip(SKIP_2) | instid1(VALU_DEP_2)
	v_dual_mov_b32 v5, v65 :: v_dual_lshrrev_b32 v2, 24, v116
	v_and_b32_e32 v40, 0x7f800000, v116
	v_and_b32_e32 v4, 0x7fffff, v116
	v_cmp_ne_u64_e32 vcc_lo, 0x7f800000, v[40:41]
                                        ; implicit-def: $vgpr40
	s_and_saveexec_b32 s8, vcc_lo
	s_delay_alu instid0(SALU_CYCLE_1)
	s_xor_b32 s20, exec_lo, s8
	s_cbranch_execz .LBB2_113
; %bb.100:                              ;   in Loop: Header=BB2_85 Depth=2
	v_and_b32_e32 v40, 0x7fffffff, v116
	v_mov_b32_e32 v41, v65
	v_and_b32_e32 v2, 0x80, v2
	s_delay_alu instid0(VALU_DEP_2) | instskip(SKIP_1) | instid1(SALU_CYCLE_1)
	v_cmp_gt_u64_e32 vcc_lo, 0x47600001, v[40:41]
                                        ; implicit-def: $vgpr40
	s_and_saveexec_b32 s8, vcc_lo
	s_xor_b32 s21, exec_lo, s8
	s_cbranch_execz .LBB2_110
; %bb.101:                              ;   in Loop: Header=BB2_85 Depth=2
	v_mov_b32_e32 v40, 0
	s_mov_b32 s22, exec_lo
	v_cmpx_ne_u32_e32 0, v116
	s_cbranch_execz .LBB2_109
; %bb.102:                              ;   in Loop: Header=BB2_85 Depth=2
	v_bfe_u32 v40, v116, 23, 8
	v_or_b32_e32 v42, 0x800000, v4
	s_delay_alu instid0(VALU_DEP_2) | instskip(SKIP_1) | instid1(VALU_DEP_2)
	v_sub_nc_u32_e32 v116, 0x71, v40
	v_cmp_gt_u32_e32 vcc_lo, 0x72, v40
	v_cndmask_b32_e32 v116, 0, v116, vcc_lo
	v_cmp_eq_u32_e32 vcc_lo, 0, v40
	s_delay_alu instid0(VALU_DEP_2) | instskip(NEXT) | instid1(VALU_DEP_1)
	v_cndmask_b32_e64 v41, v116, 0x70, vcc_lo
	v_dual_cndmask_b32 v4, v42, v4, vcc_lo :: v_dual_add_nc_u32 v116, 21, v41
	v_add_nc_u32_e32 v43, 20, v41
	s_delay_alu instid0(VALU_DEP_2) | instskip(NEXT) | instid1(VALU_DEP_2)
	v_lshlrev_b64_e64 v[116:117], v116, -1
	v_lshlrev_b64_e64 v[42:43], v43, 1
	s_delay_alu instid0(VALU_DEP_2) | instskip(SKIP_1) | instid1(VALU_DEP_4)
	v_bfi_b32 v116, v116, 0, v4
	v_lshrrev_b64 v[4:5], v41, v[4:5]
	v_bfi_b32 v117, v117, 0, 0
	s_delay_alu instid0(VALU_DEP_1) | instskip(NEXT) | instid1(VALU_DEP_3)
	v_cmp_eq_u64_e64 s8, v[116:117], v[42:43]
	v_mov_b64_e32 v[116:117], v[4:5]
	s_and_saveexec_b32 s23, s8
; %bb.103:                              ;   in Loop: Header=BB2_85 Depth=2
	v_bfe_u32 v116, v4, 21, 1
	v_mov_b32_e32 v117, v65
	s_delay_alu instid0(VALU_DEP_1) | instskip(NEXT) | instid1(VALU_DEP_1)
	v_add_nc_u64_e32 v[116:117], v[4:5], v[116:117]
	v_add_nc_u64_e32 v[116:117], -1, v[116:117]
; %bb.104:                              ;   in Loop: Header=BB2_85 Depth=2
	s_or_b32 exec_lo, exec_lo, s23
	v_add_nc_u32_e32 v5, 0xffffff81, v40
	v_lshrrev_b32_e32 v117, 23, v4
	s_mov_b32 s8, exec_lo
	s_delay_alu instid0(VALU_DEP_2) | instskip(NEXT) | instid1(VALU_DEP_1)
	v_cndmask_b32_e64 v5, v5, 0xffffff82, vcc_lo
	v_add3_u32 v117, v41, v5, v117
	v_and_b32_e32 v5, 0x1fffff, v116
                                        ; implicit-def: $vgpr116
	s_delay_alu instid0(VALU_DEP_1) | instskip(SKIP_1) | instid1(VALU_DEP_2)
	v_dual_add_nc_u32 v40, 14, v117 :: v_dual_add_nc_u32 v4, v5, v4
	v_mov_b32_e32 v5, v65
	v_cmpx_ne_u32_e32 0, v40
	s_xor_b32 s8, exec_lo, s8
; %bb.105:                              ;   in Loop: Header=BB2_85 Depth=2
	s_delay_alu instid0(VALU_DEP_2) | instskip(SKIP_2) | instid1(VALU_DEP_2)
	v_cmp_lt_u64_e32 vcc_lo, 0xffffff, v[4:5]
	v_add_nc_u32_e32 v116, 15, v117
	v_cndmask_b32_e64 v117, 0, 1, vcc_lo
	v_cndmask_b32_e32 v116, v40, v116, vcc_lo
	s_delay_alu instid0(VALU_DEP_2)
	v_lshrrev_b64 v[4:5], v117, v[4:5]
; %bb.106:                              ;   in Loop: Header=BB2_85 Depth=2
	s_and_not1_saveexec_b32 s8, s8
; %bb.107:                              ;   in Loop: Header=BB2_85 Depth=2
	s_delay_alu instid0(VALU_DEP_1)
	v_bfe_u32 v116, v4, 23, 1
; %bb.108:                              ;   in Loop: Header=BB2_85 Depth=2
	s_or_b32 exec_lo, exec_lo, s8
	s_delay_alu instid0(VALU_DEP_2) | instskip(NEXT) | instid1(VALU_DEP_2)
	v_lshrrev_b64 v[4:5], 21, v[4:5]
	v_cmp_gt_i32_e32 vcc_lo, 32, v116
	v_min_i32_e32 v117, 31, v116
	v_cmp_eq_u32_e64 s8, 0, v116
	s_delay_alu instid0(VALU_DEP_4) | instskip(NEXT) | instid1(VALU_DEP_3)
	v_cndmask_b32_e32 v5, 0, v5, vcc_lo
	v_dual_cndmask_b32 v4, 3, v4 :: v_dual_lshlrev_b32 v117, 2, v117
	s_delay_alu instid0(VALU_DEP_1) | instskip(NEXT) | instid1(VALU_DEP_2)
	v_and_b32_e32 v117, 0xfc, v117
	v_cmp_eq_u64_e32 vcc_lo, 0, v[4:5]
	s_delay_alu instid0(VALU_DEP_2)
	v_and_or_b32 v4, v4, 3, v117
	s_and_b32 s8, s8, vcc_lo
	s_delay_alu instid0(VALU_DEP_1) | instid1(SALU_CYCLE_1)
	v_cndmask_b32_e64 v4, v4, 0, s8
	s_delay_alu instid0(VALU_DEP_1)
	v_or_b32_e32 v40, v4, v2
.LBB2_109:                              ;   in Loop: Header=BB2_85 Depth=2
	s_or_b32 exec_lo, exec_lo, s22
                                        ; implicit-def: $vgpr2
.LBB2_110:                              ;   in Loop: Header=BB2_85 Depth=2
	s_and_not1_saveexec_b32 s8, s21
; %bb.111:                              ;   in Loop: Header=BB2_85 Depth=2
	v_or_b32_e32 v40, 0x7b, v2
; %bb.112:                              ;   in Loop: Header=BB2_85 Depth=2
	s_or_b32 exec_lo, exec_lo, s8
                                        ; implicit-def: $vgpr116
                                        ; implicit-def: $vgpr4_vgpr5
                                        ; implicit-def: $vgpr2
.LBB2_113:                              ;   in Loop: Header=BB2_85 Depth=2
	s_and_not1_saveexec_b32 s8, s20
	s_cbranch_execz .LBB2_119
; %bb.114:                              ;   in Loop: Header=BB2_85 Depth=2
	s_mov_b32 s20, exec_lo
                                        ; implicit-def: $vgpr40
	v_cmpx_ne_u64_e32 0, v[4:5]
	s_xor_b32 s20, exec_lo, s20
; %bb.115:                              ;   in Loop: Header=BB2_85 Depth=2
	v_or_b32_e32 v40, 0x7f, v2
                                        ; implicit-def: $vgpr116
; %bb.116:                              ;   in Loop: Header=BB2_85 Depth=2
	s_and_not1_saveexec_b32 s20, s20
; %bb.117:                              ;   in Loop: Header=BB2_85 Depth=2
	v_cmp_lt_i32_e32 vcc_lo, -1, v116
	v_cndmask_b32_e32 v40, 0xfc, v59, vcc_lo
; %bb.118:                              ;   in Loop: Header=BB2_85 Depth=2
	s_or_b32 exec_lo, exec_lo, s20
.LBB2_119:                              ;   in Loop: Header=BB2_85 Depth=2
	s_delay_alu instid0(SALU_CYCLE_1) | instskip(SKIP_3) | instid1(VALU_DEP_2)
	s_or_b32 exec_lo, exec_lo, s8
	v_lshrrev_b16 v4, 8, v64
	v_mov_b32_e32 v5, 0
	s_mov_b32 s8, exec_lo
	v_cmpx_ne_u16_e32 0, v4
	s_cbranch_execz .LBB2_129
; %bb.120:                              ;   in Loop: Header=BB2_85 Depth=2
	v_bfrev_b32_e32 v5, 1
	s_mov_b32 s20, exec_lo
	v_cmpx_ne_u16_e32 0x80, v4
	s_cbranch_execz .LBB2_128
; %bb.121:                              ;   in Loop: Header=BB2_85 Depth=2
	v_and_b32_e32 v116, 0xffff, v4
	s_delay_alu instid0(VALU_DEP_1) | instskip(SKIP_1) | instid1(VALU_DEP_2)
	v_and_b32_e32 v5, 0x7c, v116
	v_and_b32_e32 v2, 3, v116
	v_cmp_ne_u32_e32 vcc_lo, 0x7c, v5
                                        ; implicit-def: $vgpr5
	s_and_saveexec_b32 s21, vcc_lo
	s_delay_alu instid0(SALU_CYCLE_1)
	s_xor_b32 s21, exec_lo, s21
	s_cbranch_execz .LBB2_125
; %bb.122:                              ;   in Loop: Header=BB2_85 Depth=2
	v_bfe_u32 v5, v116, 2, 5
	s_mov_b32 s22, exec_lo
	s_delay_alu instid0(VALU_DEP_1)
	v_cmpx_eq_u32_e32 0, v5
; %bb.123:                              ;   in Loop: Header=BB2_85 Depth=2
	v_clz_i32_u32_e32 v2, v2
	v_mov_b32_e32 v5, v65
	s_delay_alu instid0(VALU_DEP_2) | instskip(NEXT) | instid1(VALU_DEP_1)
	v_min_u32_e32 v2, 32, v2
	v_subrev_nc_u32_e32 v116, 29, v2
	s_delay_alu instid0(VALU_DEP_1) | instskip(NEXT) | instid1(VALU_DEP_1)
	v_lshlrev_b64_e32 v[4:5], v116, v[4:5]
	v_dual_sub_nc_u32 v5, 30, v2 :: v_dual_bitop2_b32 v2, 3, v4 bitop3:0x40
; %bb.124:                              ;   in Loop: Header=BB2_85 Depth=2
	s_or_b32 exec_lo, exec_lo, s22
	v_lshlrev_b32_e32 v4, 16, v64
	s_delay_alu instid0(VALU_DEP_1) | instskip(NEXT) | instid1(VALU_DEP_1)
	v_and_b32_e32 v4, 0x80000000, v4
	v_lshl_add_u32 v4, v5, 23, v4
	s_delay_alu instid0(VALU_DEP_1) | instskip(NEXT) | instid1(VALU_DEP_1)
	v_lshl_or_b32 v2, v2, 21, v4
	v_add_nc_u32_e32 v5, 0x38000000, v2
                                        ; implicit-def: $vgpr2
.LBB2_125:                              ;   in Loop: Header=BB2_85 Depth=2
	s_and_not1_saveexec_b32 s21, s21
; %bb.126:                              ;   in Loop: Header=BB2_85 Depth=2
	v_cmp_lt_i16_e32 vcc_lo, -1, v64
	v_cndmask_b32_e32 v4, 0xff800000, v21, vcc_lo
	v_cmp_eq_u32_e32 vcc_lo, 0, v2
	s_delay_alu instid0(VALU_DEP_2)
	v_cndmask_b32_e32 v5, 0x7f800001, v4, vcc_lo
; %bb.127:                              ;   in Loop: Header=BB2_85 Depth=2
	s_or_b32 exec_lo, exec_lo, s21
.LBB2_128:                              ;   in Loop: Header=BB2_85 Depth=2
	s_delay_alu instid0(SALU_CYCLE_1)
	s_or_b32 exec_lo, exec_lo, s20
.LBB2_129:                              ;   in Loop: Header=BB2_85 Depth=2
	s_delay_alu instid0(SALU_CYCLE_1) | instskip(NEXT) | instid1(VALU_DEP_1)
	s_or_b32 exec_lo, exec_lo, s8
	v_dual_mul_f32 v116, v56, v5 :: v_dual_mov_b32 v43, v65
	v_mov_b32_e32 v5, v65
                                        ; implicit-def: $vgpr41
	s_mov_b32 s8, exec_lo
	s_delay_alu instid0(VALU_DEP_2) | instskip(SKIP_2) | instid1(VALU_DEP_3)
	v_and_b32_e32 v42, 0x7f800000, v116
	v_and_b32_e32 v4, 0x7fffff, v116
	v_lshrrev_b32_e32 v2, 24, v116
	v_cmpx_ne_u64_e32 0x7f800000, v[42:43]
	s_xor_b32 s20, exec_lo, s8
	s_cbranch_execz .LBB2_143
; %bb.130:                              ;   in Loop: Header=BB2_85 Depth=2
	v_and_b32_e32 v42, 0x7fffffff, v116
	v_mov_b32_e32 v43, v65
	v_and_b32_e32 v2, 0x80, v2
                                        ; implicit-def: $vgpr41
	s_mov_b32 s8, exec_lo
	s_delay_alu instid0(VALU_DEP_2)
	v_cmpx_gt_u64_e32 0x47600001, v[42:43]
	s_xor_b32 s21, exec_lo, s8
	s_cbranch_execz .LBB2_140
; %bb.131:                              ;   in Loop: Header=BB2_85 Depth=2
	v_mov_b32_e32 v41, 0
	s_mov_b32 s22, exec_lo
	v_cmpx_ne_u32_e32 0, v116
	s_cbranch_execz .LBB2_139
; %bb.132:                              ;   in Loop: Header=BB2_85 Depth=2
	v_bfe_u32 v41, v116, 23, 8
	v_or_b32_e32 v43, 0x800000, v4
	s_delay_alu instid0(VALU_DEP_2) | instskip(SKIP_1) | instid1(VALU_DEP_2)
	v_sub_nc_u32_e32 v116, 0x71, v41
	v_cmp_gt_u32_e32 vcc_lo, 0x72, v41
	v_cndmask_b32_e32 v116, 0, v116, vcc_lo
	v_cmp_eq_u32_e32 vcc_lo, 0, v41
	s_delay_alu instid0(VALU_DEP_2) | instskip(NEXT) | instid1(VALU_DEP_1)
	v_cndmask_b32_e64 v42, v116, 0x70, vcc_lo
	v_dual_cndmask_b32 v4, v43, v4, vcc_lo :: v_dual_add_nc_u32 v116, 21, v42
	v_add_nc_u32_e32 v46, 20, v42
	s_delay_alu instid0(VALU_DEP_2) | instskip(NEXT) | instid1(VALU_DEP_2)
	v_lshlrev_b64_e64 v[116:117], v116, -1
	v_lshlrev_b64_e64 v[46:47], v46, 1
	s_delay_alu instid0(VALU_DEP_2) | instskip(SKIP_1) | instid1(VALU_DEP_4)
	v_bfi_b32 v116, v116, 0, v4
	v_lshrrev_b64 v[4:5], v42, v[4:5]
	v_bfi_b32 v117, v117, 0, 0
	s_delay_alu instid0(VALU_DEP_1) | instskip(NEXT) | instid1(VALU_DEP_3)
	v_cmp_eq_u64_e64 s8, v[116:117], v[46:47]
	v_mov_b64_e32 v[116:117], v[4:5]
	s_and_saveexec_b32 s23, s8
; %bb.133:                              ;   in Loop: Header=BB2_85 Depth=2
	v_bfe_u32 v116, v4, 21, 1
	v_mov_b32_e32 v117, v65
	s_delay_alu instid0(VALU_DEP_1) | instskip(NEXT) | instid1(VALU_DEP_1)
	v_add_nc_u64_e32 v[116:117], v[4:5], v[116:117]
	v_add_nc_u64_e32 v[116:117], -1, v[116:117]
; %bb.134:                              ;   in Loop: Header=BB2_85 Depth=2
	s_or_b32 exec_lo, exec_lo, s23
	v_add_nc_u32_e32 v5, 0xffffff81, v41
	v_lshrrev_b32_e32 v117, 23, v4
	s_mov_b32 s8, exec_lo
	s_delay_alu instid0(VALU_DEP_2) | instskip(NEXT) | instid1(VALU_DEP_1)
	v_cndmask_b32_e64 v5, v5, 0xffffff82, vcc_lo
	v_add3_u32 v117, v42, v5, v117
	v_and_b32_e32 v5, 0x1fffff, v116
                                        ; implicit-def: $vgpr116
	s_delay_alu instid0(VALU_DEP_1) | instskip(SKIP_1) | instid1(VALU_DEP_2)
	v_dual_add_nc_u32 v41, 14, v117 :: v_dual_add_nc_u32 v4, v5, v4
	v_mov_b32_e32 v5, v65
	v_cmpx_ne_u32_e32 0, v41
	s_xor_b32 s8, exec_lo, s8
; %bb.135:                              ;   in Loop: Header=BB2_85 Depth=2
	s_delay_alu instid0(VALU_DEP_2) | instskip(SKIP_2) | instid1(VALU_DEP_2)
	v_cmp_lt_u64_e32 vcc_lo, 0xffffff, v[4:5]
	v_add_nc_u32_e32 v116, 15, v117
	v_cndmask_b32_e64 v117, 0, 1, vcc_lo
	v_cndmask_b32_e32 v116, v41, v116, vcc_lo
	s_delay_alu instid0(VALU_DEP_2)
	v_lshrrev_b64 v[4:5], v117, v[4:5]
; %bb.136:                              ;   in Loop: Header=BB2_85 Depth=2
	s_and_not1_saveexec_b32 s8, s8
; %bb.137:                              ;   in Loop: Header=BB2_85 Depth=2
	s_delay_alu instid0(VALU_DEP_1)
	v_bfe_u32 v116, v4, 23, 1
; %bb.138:                              ;   in Loop: Header=BB2_85 Depth=2
	s_or_b32 exec_lo, exec_lo, s8
	s_delay_alu instid0(VALU_DEP_2) | instskip(NEXT) | instid1(VALU_DEP_2)
	v_lshrrev_b64 v[4:5], 21, v[4:5]
	v_cmp_gt_i32_e32 vcc_lo, 32, v116
	v_min_i32_e32 v117, 31, v116
	v_cmp_eq_u32_e64 s8, 0, v116
	s_delay_alu instid0(VALU_DEP_4) | instskip(NEXT) | instid1(VALU_DEP_3)
	v_cndmask_b32_e32 v5, 0, v5, vcc_lo
	v_dual_cndmask_b32 v4, 3, v4 :: v_dual_lshlrev_b32 v117, 2, v117
	s_delay_alu instid0(VALU_DEP_1) | instskip(NEXT) | instid1(VALU_DEP_2)
	v_and_b32_e32 v117, 0xfc, v117
	v_cmp_eq_u64_e32 vcc_lo, 0, v[4:5]
	s_delay_alu instid0(VALU_DEP_2)
	v_and_or_b32 v4, v4, 3, v117
	s_and_b32 s8, s8, vcc_lo
	s_delay_alu instid0(VALU_DEP_1) | instid1(SALU_CYCLE_1)
	v_cndmask_b32_e64 v4, v4, 0, s8
	s_delay_alu instid0(VALU_DEP_1)
	v_or_b32_e32 v41, v4, v2
.LBB2_139:                              ;   in Loop: Header=BB2_85 Depth=2
	s_or_b32 exec_lo, exec_lo, s22
                                        ; implicit-def: $vgpr2
.LBB2_140:                              ;   in Loop: Header=BB2_85 Depth=2
	s_and_not1_saveexec_b32 s8, s21
; %bb.141:                              ;   in Loop: Header=BB2_85 Depth=2
	v_or_b32_e32 v41, 0x7b, v2
; %bb.142:                              ;   in Loop: Header=BB2_85 Depth=2
	s_or_b32 exec_lo, exec_lo, s8
                                        ; implicit-def: $vgpr116
                                        ; implicit-def: $vgpr4_vgpr5
                                        ; implicit-def: $vgpr2
.LBB2_143:                              ;   in Loop: Header=BB2_85 Depth=2
	s_and_not1_saveexec_b32 s8, s20
	s_cbranch_execz .LBB2_149
; %bb.144:                              ;   in Loop: Header=BB2_85 Depth=2
	s_mov_b32 s20, exec_lo
                                        ; implicit-def: $vgpr41
	v_cmpx_ne_u64_e32 0, v[4:5]
	s_xor_b32 s20, exec_lo, s20
; %bb.145:                              ;   in Loop: Header=BB2_85 Depth=2
	v_or_b32_e32 v41, 0x7f, v2
                                        ; implicit-def: $vgpr116
; %bb.146:                              ;   in Loop: Header=BB2_85 Depth=2
	s_and_not1_saveexec_b32 s20, s20
; %bb.147:                              ;   in Loop: Header=BB2_85 Depth=2
	v_cmp_lt_i32_e32 vcc_lo, -1, v116
	v_cndmask_b32_e32 v41, 0xfc, v59, vcc_lo
; %bb.148:                              ;   in Loop: Header=BB2_85 Depth=2
	s_or_b32 exec_lo, exec_lo, s20
.LBB2_149:                              ;   in Loop: Header=BB2_85 Depth=2
	s_delay_alu instid0(SALU_CYCLE_1) | instskip(SKIP_2) | instid1(VALU_DEP_1)
	s_or_b32 exec_lo, exec_lo, s8
	v_dual_mov_b32 v2, 0 :: v_dual_lshrrev_b32 v5, 16, v64
	s_mov_b32 s8, exec_lo
	v_and_b32_e32 v4, 0xff, v5
	s_delay_alu instid0(VALU_DEP_1)
	v_cmpx_ne_u16_e32 0, v4
	s_cbranch_execz .LBB2_159
; %bb.150:                              ;   in Loop: Header=BB2_85 Depth=2
	v_bfrev_b32_e32 v2, 1
	s_mov_b32 s20, exec_lo
	v_cmpx_ne_u16_e32 0x80, v4
	s_cbranch_execz .LBB2_158
; %bb.151:                              ;   in Loop: Header=BB2_85 Depth=2
	v_and_b32_e32 v2, 0x7c0000, v64
	v_bfe_u32 v4, v64, 16, 2
	s_delay_alu instid0(VALU_DEP_2) | instskip(SKIP_1) | instid1(SALU_CYCLE_1)
	v_cmp_ne_u32_e32 vcc_lo, 0x7c0000, v2
                                        ; implicit-def: $vgpr2
	s_and_saveexec_b32 s21, vcc_lo
	s_xor_b32 s21, exec_lo, s21
	s_cbranch_execz .LBB2_155
; %bb.152:                              ;   in Loop: Header=BB2_85 Depth=2
	v_bfe_u32 v5, v64, 18, 5
	v_lshrrev_b32_e32 v2, 16, v64
	s_mov_b32 s22, exec_lo
	s_delay_alu instid0(VALU_DEP_2)
	v_cmpx_eq_u32_e32 0, v5
; %bb.153:                              ;   in Loop: Header=BB2_85 Depth=2
	v_clz_i32_u32_e32 v4, v4
	s_delay_alu instid0(VALU_DEP_1) | instskip(NEXT) | instid1(VALU_DEP_1)
	v_min_u32_e32 v116, 32, v4
	v_subrev_nc_u32_e32 v4, 29, v116
	s_delay_alu instid0(VALU_DEP_1) | instskip(SKIP_1) | instid1(VALU_DEP_2)
	v_lshlrev_b64_e32 v[4:5], v4, v[2:3]
	v_sub_nc_u32_e32 v5, 30, v116
	v_and_b32_e32 v4, 3, v4
; %bb.154:                              ;   in Loop: Header=BB2_85 Depth=2
	s_or_b32 exec_lo, exec_lo, s22
	v_lshlrev_b32_e32 v2, 24, v2
	s_delay_alu instid0(VALU_DEP_1) | instskip(NEXT) | instid1(VALU_DEP_1)
	v_and_b32_e32 v2, 0x80000000, v2
	v_lshl_add_u32 v2, v5, 23, v2
                                        ; implicit-def: $vgpr5
	s_delay_alu instid0(VALU_DEP_1) | instskip(NEXT) | instid1(VALU_DEP_1)
	v_lshl_or_b32 v2, v4, 21, v2
                                        ; implicit-def: $vgpr4
	v_add_nc_u32_e32 v2, 0x38000000, v2
.LBB2_155:                              ;   in Loop: Header=BB2_85 Depth=2
	s_and_not1_saveexec_b32 s21, s21
; %bb.156:                              ;   in Loop: Header=BB2_85 Depth=2
	v_bfe_i32 v2, v5, 0, 8
	s_delay_alu instid0(VALU_DEP_1) | instskip(SKIP_2) | instid1(VALU_DEP_2)
	v_cmp_lt_i16_e32 vcc_lo, -1, v2
	v_cndmask_b32_e32 v2, 0xff800000, v21, vcc_lo
	v_cmp_eq_u32_e32 vcc_lo, 0, v4
	v_cndmask_b32_e32 v2, 0x7f800001, v2, vcc_lo
; %bb.157:                              ;   in Loop: Header=BB2_85 Depth=2
	s_or_b32 exec_lo, exec_lo, s21
.LBB2_158:                              ;   in Loop: Header=BB2_85 Depth=2
	s_delay_alu instid0(SALU_CYCLE_1)
	s_or_b32 exec_lo, exec_lo, s20
.LBB2_159:                              ;   in Loop: Header=BB2_85 Depth=2
	s_delay_alu instid0(SALU_CYCLE_1) | instskip(NEXT) | instid1(VALU_DEP_1)
	s_or_b32 exec_lo, exec_lo, s8
	v_dual_mul_f32 v116, v56, v2 :: v_dual_mov_b32 v43, v65
	s_delay_alu instid0(VALU_DEP_1) | instskip(SKIP_2) | instid1(VALU_DEP_2)
	v_dual_mov_b32 v5, v65 :: v_dual_lshrrev_b32 v2, 24, v116
	v_and_b32_e32 v42, 0x7f800000, v116
	v_and_b32_e32 v4, 0x7fffff, v116
	v_cmp_ne_u64_e32 vcc_lo, 0x7f800000, v[42:43]
                                        ; implicit-def: $vgpr42
	s_and_saveexec_b32 s8, vcc_lo
	s_delay_alu instid0(SALU_CYCLE_1)
	s_xor_b32 s20, exec_lo, s8
	s_cbranch_execz .LBB2_173
; %bb.160:                              ;   in Loop: Header=BB2_85 Depth=2
	v_and_b32_e32 v42, 0x7fffffff, v116
	v_mov_b32_e32 v43, v65
	v_and_b32_e32 v2, 0x80, v2
	s_delay_alu instid0(VALU_DEP_2) | instskip(SKIP_1) | instid1(SALU_CYCLE_1)
	v_cmp_gt_u64_e32 vcc_lo, 0x47600001, v[42:43]
                                        ; implicit-def: $vgpr42
	s_and_saveexec_b32 s8, vcc_lo
	s_xor_b32 s21, exec_lo, s8
	s_cbranch_execz .LBB2_170
; %bb.161:                              ;   in Loop: Header=BB2_85 Depth=2
	v_mov_b32_e32 v42, 0
	s_mov_b32 s22, exec_lo
	v_cmpx_ne_u32_e32 0, v116
	s_cbranch_execz .LBB2_169
; %bb.162:                              ;   in Loop: Header=BB2_85 Depth=2
	v_bfe_u32 v42, v116, 23, 8
	v_or_b32_e32 v46, 0x800000, v4
	s_delay_alu instid0(VALU_DEP_2) | instskip(SKIP_1) | instid1(VALU_DEP_2)
	v_sub_nc_u32_e32 v116, 0x71, v42
	v_cmp_gt_u32_e32 vcc_lo, 0x72, v42
	v_cndmask_b32_e32 v116, 0, v116, vcc_lo
	v_cmp_eq_u32_e32 vcc_lo, 0, v42
	s_delay_alu instid0(VALU_DEP_2) | instskip(NEXT) | instid1(VALU_DEP_1)
	v_cndmask_b32_e64 v43, v116, 0x70, vcc_lo
	v_dual_cndmask_b32 v4, v46, v4, vcc_lo :: v_dual_add_nc_u32 v116, 21, v43
	v_add_nc_u32_e32 v47, 20, v43
	s_delay_alu instid0(VALU_DEP_2) | instskip(NEXT) | instid1(VALU_DEP_2)
	v_lshlrev_b64_e64 v[116:117], v116, -1
	v_lshlrev_b64_e64 v[46:47], v47, 1
	s_delay_alu instid0(VALU_DEP_2) | instskip(SKIP_1) | instid1(VALU_DEP_4)
	v_bfi_b32 v116, v116, 0, v4
	v_lshrrev_b64 v[4:5], v43, v[4:5]
	v_bfi_b32 v117, v117, 0, 0
	s_delay_alu instid0(VALU_DEP_1) | instskip(NEXT) | instid1(VALU_DEP_3)
	v_cmp_eq_u64_e64 s8, v[116:117], v[46:47]
	v_mov_b64_e32 v[116:117], v[4:5]
	s_and_saveexec_b32 s23, s8
; %bb.163:                              ;   in Loop: Header=BB2_85 Depth=2
	v_bfe_u32 v116, v4, 21, 1
	v_mov_b32_e32 v117, v65
	s_delay_alu instid0(VALU_DEP_1) | instskip(NEXT) | instid1(VALU_DEP_1)
	v_add_nc_u64_e32 v[116:117], v[4:5], v[116:117]
	v_add_nc_u64_e32 v[116:117], -1, v[116:117]
; %bb.164:                              ;   in Loop: Header=BB2_85 Depth=2
	s_or_b32 exec_lo, exec_lo, s23
	v_add_nc_u32_e32 v5, 0xffffff81, v42
	v_lshrrev_b32_e32 v117, 23, v4
	s_mov_b32 s8, exec_lo
	s_delay_alu instid0(VALU_DEP_2) | instskip(NEXT) | instid1(VALU_DEP_1)
	v_cndmask_b32_e64 v5, v5, 0xffffff82, vcc_lo
	v_add3_u32 v117, v43, v5, v117
	v_and_b32_e32 v5, 0x1fffff, v116
                                        ; implicit-def: $vgpr116
	s_delay_alu instid0(VALU_DEP_1) | instskip(SKIP_1) | instid1(VALU_DEP_2)
	v_dual_add_nc_u32 v42, 14, v117 :: v_dual_add_nc_u32 v4, v5, v4
	v_mov_b32_e32 v5, v65
	v_cmpx_ne_u32_e32 0, v42
	s_xor_b32 s8, exec_lo, s8
; %bb.165:                              ;   in Loop: Header=BB2_85 Depth=2
	s_delay_alu instid0(VALU_DEP_2) | instskip(SKIP_2) | instid1(VALU_DEP_2)
	v_cmp_lt_u64_e32 vcc_lo, 0xffffff, v[4:5]
	v_add_nc_u32_e32 v116, 15, v117
	v_cndmask_b32_e64 v117, 0, 1, vcc_lo
	v_cndmask_b32_e32 v116, v42, v116, vcc_lo
	s_delay_alu instid0(VALU_DEP_2)
	v_lshrrev_b64 v[4:5], v117, v[4:5]
; %bb.166:                              ;   in Loop: Header=BB2_85 Depth=2
	s_and_not1_saveexec_b32 s8, s8
; %bb.167:                              ;   in Loop: Header=BB2_85 Depth=2
	s_delay_alu instid0(VALU_DEP_1)
	v_bfe_u32 v116, v4, 23, 1
; %bb.168:                              ;   in Loop: Header=BB2_85 Depth=2
	s_or_b32 exec_lo, exec_lo, s8
	s_delay_alu instid0(VALU_DEP_2) | instskip(NEXT) | instid1(VALU_DEP_2)
	v_lshrrev_b64 v[4:5], 21, v[4:5]
	v_cmp_gt_i32_e32 vcc_lo, 32, v116
	v_min_i32_e32 v117, 31, v116
	v_cmp_eq_u32_e64 s8, 0, v116
	s_delay_alu instid0(VALU_DEP_4) | instskip(NEXT) | instid1(VALU_DEP_3)
	v_cndmask_b32_e32 v5, 0, v5, vcc_lo
	v_dual_cndmask_b32 v4, 3, v4 :: v_dual_lshlrev_b32 v117, 2, v117
	s_delay_alu instid0(VALU_DEP_1) | instskip(NEXT) | instid1(VALU_DEP_2)
	v_and_b32_e32 v117, 0xfc, v117
	v_cmp_eq_u64_e32 vcc_lo, 0, v[4:5]
	s_delay_alu instid0(VALU_DEP_2)
	v_and_or_b32 v4, v4, 3, v117
	s_and_b32 s8, s8, vcc_lo
	s_delay_alu instid0(VALU_DEP_1) | instid1(SALU_CYCLE_1)
	v_cndmask_b32_e64 v4, v4, 0, s8
	s_delay_alu instid0(VALU_DEP_1)
	v_or_b32_e32 v42, v4, v2
.LBB2_169:                              ;   in Loop: Header=BB2_85 Depth=2
	s_or_b32 exec_lo, exec_lo, s22
                                        ; implicit-def: $vgpr2
.LBB2_170:                              ;   in Loop: Header=BB2_85 Depth=2
	s_and_not1_saveexec_b32 s8, s21
; %bb.171:                              ;   in Loop: Header=BB2_85 Depth=2
	v_or_b32_e32 v42, 0x7b, v2
; %bb.172:                              ;   in Loop: Header=BB2_85 Depth=2
	s_or_b32 exec_lo, exec_lo, s8
                                        ; implicit-def: $vgpr116
                                        ; implicit-def: $vgpr4_vgpr5
                                        ; implicit-def: $vgpr2
.LBB2_173:                              ;   in Loop: Header=BB2_85 Depth=2
	s_and_not1_saveexec_b32 s8, s20
	s_cbranch_execz .LBB2_179
; %bb.174:                              ;   in Loop: Header=BB2_85 Depth=2
	s_mov_b32 s20, exec_lo
                                        ; implicit-def: $vgpr42
	v_cmpx_ne_u64_e32 0, v[4:5]
	s_xor_b32 s20, exec_lo, s20
; %bb.175:                              ;   in Loop: Header=BB2_85 Depth=2
	v_or_b32_e32 v42, 0x7f, v2
                                        ; implicit-def: $vgpr116
; %bb.176:                              ;   in Loop: Header=BB2_85 Depth=2
	s_and_not1_saveexec_b32 s20, s20
; %bb.177:                              ;   in Loop: Header=BB2_85 Depth=2
	v_cmp_lt_i32_e32 vcc_lo, -1, v116
	v_cndmask_b32_e32 v42, 0xfc, v59, vcc_lo
; %bb.178:                              ;   in Loop: Header=BB2_85 Depth=2
	s_or_b32 exec_lo, exec_lo, s20
.LBB2_179:                              ;   in Loop: Header=BB2_85 Depth=2
	s_delay_alu instid0(SALU_CYCLE_1)
	s_or_b32 exec_lo, exec_lo, s8
	v_mov_b32_e32 v4, 0
	s_mov_b32 s8, exec_lo
	v_cmpx_lt_u32_e32 0xffffff, v64
	s_cbranch_execz .LBB2_189
; %bb.180:                              ;   in Loop: Header=BB2_85 Depth=2
	v_lshrrev_b32_e32 v2, 24, v64
	v_bfrev_b32_e32 v4, 1
	s_mov_b32 s20, exec_lo
	s_delay_alu instid0(VALU_DEP_2)
	v_cmpx_ne_u32_e32 0x80, v2
	s_cbranch_execz .LBB2_188
; %bb.181:                              ;   in Loop: Header=BB2_85 Depth=2
	v_and_b32_e32 v4, 0x7c000000, v64
	v_bfe_u32 v5, v64, 24, 2
	s_delay_alu instid0(VALU_DEP_2) | instskip(SKIP_1) | instid1(SALU_CYCLE_1)
	v_cmp_ne_u32_e32 vcc_lo, 0x7c000000, v4
                                        ; implicit-def: $vgpr4
	s_and_saveexec_b32 s21, vcc_lo
	s_xor_b32 s21, exec_lo, s21
	s_cbranch_execz .LBB2_185
; %bb.182:                              ;   in Loop: Header=BB2_85 Depth=2
	v_bfe_u32 v4, v64, 26, 5
	s_mov_b32 s22, exec_lo
	s_delay_alu instid0(VALU_DEP_1)
	v_cmpx_eq_u32_e32 0, v4
; %bb.183:                              ;   in Loop: Header=BB2_85 Depth=2
	v_clz_i32_u32_e32 v4, v5
	s_delay_alu instid0(VALU_DEP_1) | instskip(NEXT) | instid1(VALU_DEP_1)
	v_min_u32_e32 v4, 32, v4
	v_subrev_nc_u32_e32 v5, 29, v4
	v_sub_nc_u32_e32 v4, 30, v4
	s_delay_alu instid0(VALU_DEP_2) | instskip(NEXT) | instid1(VALU_DEP_1)
	v_lshlrev_b64_e32 v[116:117], v5, v[2:3]
	v_and_b32_e32 v5, 3, v116
; %bb.184:                              ;   in Loop: Header=BB2_85 Depth=2
	s_or_b32 exec_lo, exec_lo, s22
	v_and_b32_e32 v2, 0x80000000, v64
	s_delay_alu instid0(VALU_DEP_1) | instskip(NEXT) | instid1(VALU_DEP_1)
	v_lshl_add_u32 v2, v4, 23, v2
	v_lshl_or_b32 v2, v5, 21, v2
                                        ; implicit-def: $vgpr5
	s_delay_alu instid0(VALU_DEP_1)
	v_add_nc_u32_e32 v4, 0x38000000, v2
.LBB2_185:                              ;   in Loop: Header=BB2_85 Depth=2
	s_and_not1_saveexec_b32 s21, s21
; %bb.186:                              ;   in Loop: Header=BB2_85 Depth=2
	v_cmp_lt_i32_e32 vcc_lo, -1, v64
	v_cndmask_b32_e32 v2, 0xff800000, v21, vcc_lo
	v_cmp_eq_u32_e32 vcc_lo, 0, v5
	s_delay_alu instid0(VALU_DEP_2)
	v_cndmask_b32_e32 v4, 0x7f800001, v2, vcc_lo
; %bb.187:                              ;   in Loop: Header=BB2_85 Depth=2
	s_or_b32 exec_lo, exec_lo, s21
.LBB2_188:                              ;   in Loop: Header=BB2_85 Depth=2
	s_delay_alu instid0(SALU_CYCLE_1)
	s_or_b32 exec_lo, exec_lo, s20
.LBB2_189:                              ;   in Loop: Header=BB2_85 Depth=2
	s_delay_alu instid0(SALU_CYCLE_1) | instskip(NEXT) | instid1(VALU_DEP_1)
	s_or_b32 exec_lo, exec_lo, s8
	v_dual_mul_f32 v4, v56, v4 :: v_dual_mov_b32 v117, v65
                                        ; implicit-def: $vgpr43
	s_mov_b32 s8, exec_lo
	s_delay_alu instid0(VALU_DEP_1) | instskip(SKIP_2) | instid1(VALU_DEP_3)
	v_and_b32_e32 v116, 0x7f800000, v4
	v_and_b32_e32 v64, 0x7fffff, v4
	v_lshrrev_b32_e32 v2, 24, v4
	v_cmpx_ne_u64_e32 0x7f800000, v[116:117]
	s_xor_b32 s20, exec_lo, s8
	s_cbranch_execz .LBB2_203
; %bb.190:                              ;   in Loop: Header=BB2_85 Depth=2
	v_and_b32_e32 v116, 0x7fffffff, v4
	v_mov_b32_e32 v117, v65
	v_and_b32_e32 v2, 0x80, v2
                                        ; implicit-def: $vgpr43
	s_mov_b32 s8, exec_lo
	s_delay_alu instid0(VALU_DEP_2)
	v_cmpx_gt_u64_e32 0x47600001, v[116:117]
	s_xor_b32 s21, exec_lo, s8
	s_cbranch_execz .LBB2_200
; %bb.191:                              ;   in Loop: Header=BB2_85 Depth=2
	v_mov_b32_e32 v43, 0
	s_mov_b32 s22, exec_lo
	v_cmpx_ne_u32_e32 0, v4
	s_cbranch_execz .LBB2_199
; %bb.192:                              ;   in Loop: Header=BB2_85 Depth=2
	v_bfe_u32 v43, v4, 23, 8
	v_or_b32_e32 v116, 0x800000, v64
	s_delay_alu instid0(VALU_DEP_2) | instskip(SKIP_1) | instid1(VALU_DEP_2)
	v_sub_nc_u32_e32 v4, 0x71, v43
	v_cmp_gt_u32_e32 vcc_lo, 0x72, v43
	v_cndmask_b32_e32 v4, 0, v4, vcc_lo
	v_cmp_eq_u32_e32 vcc_lo, 0, v43
	s_delay_alu instid0(VALU_DEP_2) | instskip(NEXT) | instid1(VALU_DEP_1)
	v_cndmask_b32_e64 v46, v4, 0x70, vcc_lo
	v_dual_cndmask_b32 v64, v116, v64, vcc_lo :: v_dual_add_nc_u32 v4, 21, v46
	v_add_nc_u32_e32 v117, 20, v46
	s_delay_alu instid0(VALU_DEP_2) | instskip(NEXT) | instid1(VALU_DEP_2)
	v_lshlrev_b64_e64 v[4:5], v4, -1
	v_lshlrev_b64_e64 v[116:117], v117, 1
	s_delay_alu instid0(VALU_DEP_2) | instskip(NEXT) | instid1(VALU_DEP_3)
	v_bfi_b32 v63, v5, 0, 0
	v_bfi_b32 v62, v4, 0, v64
	v_lshrrev_b64 v[4:5], v46, v[64:65]
	s_delay_alu instid0(VALU_DEP_2) | instskip(NEXT) | instid1(VALU_DEP_2)
	v_cmp_eq_u64_e64 s8, v[62:63], v[116:117]
	v_mov_b64_e32 v[116:117], v[4:5]
	s_and_saveexec_b32 s23, s8
; %bb.193:                              ;   in Loop: Header=BB2_85 Depth=2
	v_bfe_u32 v64, v4, 21, 1
	s_delay_alu instid0(VALU_DEP_1) | instskip(NEXT) | instid1(VALU_DEP_1)
	v_add_nc_u64_e32 v[116:117], v[4:5], v[64:65]
	v_add_nc_u64_e32 v[116:117], -1, v[116:117]
; %bb.194:                              ;   in Loop: Header=BB2_85 Depth=2
	s_or_b32 exec_lo, exec_lo, s23
	v_add_nc_u32_e32 v5, 0xffffff81, v43
	v_lshrrev_b32_e32 v64, 23, v4
	s_mov_b32 s8, exec_lo
	s_delay_alu instid0(VALU_DEP_2) | instskip(NEXT) | instid1(VALU_DEP_1)
	v_cndmask_b32_e64 v5, v5, 0xffffff82, vcc_lo
	v_add3_u32 v117, v46, v5, v64
	v_and_b32_e32 v5, 0x1fffff, v116
                                        ; implicit-def: $vgpr116
	s_delay_alu instid0(VALU_DEP_1) | instskip(NEXT) | instid1(VALU_DEP_1)
	v_dual_add_nc_u32 v43, 14, v117 :: v_dual_add_nc_u32 v64, v5, v4
                                        ; implicit-def: $vgpr4_vgpr5
	v_cmpx_ne_u32_e32 0, v43
	s_xor_b32 s8, exec_lo, s8
; %bb.195:                              ;   in Loop: Header=BB2_85 Depth=2
	s_delay_alu instid0(VALU_DEP_2) | instskip(SKIP_1) | instid1(VALU_DEP_1)
	v_cmp_lt_u64_e32 vcc_lo, 0xffffff, v[64:65]
	v_add_nc_u32_e32 v4, 15, v117
	v_cndmask_b32_e32 v116, v43, v4, vcc_lo
	v_cndmask_b32_e64 v4, 0, 1, vcc_lo
	s_delay_alu instid0(VALU_DEP_1)
	v_lshrrev_b64 v[4:5], v4, v[64:65]
; %bb.196:                              ;   in Loop: Header=BB2_85 Depth=2
	s_and_not1_saveexec_b32 s8, s8
; %bb.197:                              ;   in Loop: Header=BB2_85 Depth=2
	v_mov_b64_e32 v[4:5], v[64:65]
	v_bfe_u32 v116, v64, 23, 1
; %bb.198:                              ;   in Loop: Header=BB2_85 Depth=2
	s_or_b32 exec_lo, exec_lo, s8
	s_delay_alu instid0(VALU_DEP_2) | instskip(NEXT) | instid1(VALU_DEP_2)
	v_lshrrev_b64 v[4:5], 21, v[4:5]
	v_cmp_gt_i32_e32 vcc_lo, 32, v116
	v_min_i32_e32 v64, 31, v116
	v_cmp_eq_u32_e64 s8, 0, v116
	s_delay_alu instid0(VALU_DEP_2) | instskip(SKIP_1) | instid1(VALU_DEP_2)
	v_dual_cndmask_b32 v5, 0, v5 :: v_dual_lshlrev_b32 v64, 2, v64
	v_cndmask_b32_e32 v4, 3, v4, vcc_lo
	v_and_b32_e32 v64, 0xfc, v64
	s_delay_alu instid0(VALU_DEP_2) | instskip(NEXT) | instid1(VALU_DEP_2)
	v_cmp_eq_u64_e32 vcc_lo, 0, v[4:5]
	v_and_or_b32 v4, v4, 3, v64
	s_and_b32 s8, s8, vcc_lo
	s_delay_alu instid0(VALU_DEP_1) | instid1(SALU_CYCLE_1)
	v_cndmask_b32_e64 v4, v4, 0, s8
	s_delay_alu instid0(VALU_DEP_1)
	v_or_b32_e32 v43, v4, v2
.LBB2_199:                              ;   in Loop: Header=BB2_85 Depth=2
	s_or_b32 exec_lo, exec_lo, s22
                                        ; implicit-def: $vgpr2
.LBB2_200:                              ;   in Loop: Header=BB2_85 Depth=2
	s_and_not1_saveexec_b32 s8, s21
; %bb.201:                              ;   in Loop: Header=BB2_85 Depth=2
	v_or_b32_e32 v43, 0x7b, v2
; %bb.202:                              ;   in Loop: Header=BB2_85 Depth=2
	s_or_b32 exec_lo, exec_lo, s8
                                        ; implicit-def: $vgpr4
                                        ; implicit-def: $vgpr2
.LBB2_203:                              ;   in Loop: Header=BB2_85 Depth=2
	s_and_not1_saveexec_b32 s8, s20
	s_cbranch_execz .LBB2_209
; %bb.204:                              ;   in Loop: Header=BB2_85 Depth=2
	s_mov_b32 s20, exec_lo
                                        ; implicit-def: $vgpr43
	v_cmpx_ne_u64_e32 0, v[64:65]
	s_xor_b32 s20, exec_lo, s20
; %bb.205:                              ;   in Loop: Header=BB2_85 Depth=2
	v_or_b32_e32 v43, 0x7f, v2
                                        ; implicit-def: $vgpr4
; %bb.206:                              ;   in Loop: Header=BB2_85 Depth=2
	s_and_not1_saveexec_b32 s20, s20
; %bb.207:                              ;   in Loop: Header=BB2_85 Depth=2
	v_cmp_lt_i32_e32 vcc_lo, -1, v4
	v_cndmask_b32_e32 v43, 0xfc, v59, vcc_lo
; %bb.208:                              ;   in Loop: Header=BB2_85 Depth=2
	s_or_b32 exec_lo, exec_lo, s20
.LBB2_209:                              ;   in Loop: Header=BB2_85 Depth=2
	s_delay_alu instid0(SALU_CYCLE_1) | instskip(SKIP_1) | instid1(VALU_DEP_1)
	s_or_b32 exec_lo, exec_lo, s8
	v_alignbit_b32 v64, v44, v45, v118
	v_and_b32_e32 v2, 0xff, v64
	s_delay_alu instid0(VALU_DEP_1)
	v_cmp_ne_u16_e32 vcc_lo, 0, v2
	v_mov_b32_e32 v2, 0
	s_and_saveexec_b32 s8, vcc_lo
	s_cbranch_execz .LBB2_219
; %bb.210:                              ;   in Loop: Header=BB2_85 Depth=2
	v_bfe_i32 v5, v64, 0, 8
	v_bfrev_b32_e32 v2, 1
	s_mov_b32 s20, exec_lo
	s_delay_alu instid0(VALU_DEP_2)
	v_cmpx_ne_u16_e32 0xff80, v5
	s_cbranch_execz .LBB2_218
; %bb.211:                              ;   in Loop: Header=BB2_85 Depth=2
	v_and_b32_e32 v2, 0x7c, v64
	v_and_b32_e32 v4, 3, v64
	s_delay_alu instid0(VALU_DEP_2) | instskip(SKIP_1) | instid1(SALU_CYCLE_1)
	v_cmp_ne_u32_e32 vcc_lo, 0x7c, v2
                                        ; implicit-def: $vgpr2
	s_and_saveexec_b32 s21, vcc_lo
	s_xor_b32 s21, exec_lo, s21
	s_cbranch_execz .LBB2_215
; %bb.212:                              ;   in Loop: Header=BB2_85 Depth=2
	v_bfe_u32 v2, v64, 2, 5
	s_mov_b32 s22, exec_lo
	s_delay_alu instid0(VALU_DEP_1)
	v_cmpx_eq_u32_e32 0, v2
; %bb.213:                              ;   in Loop: Header=BB2_85 Depth=2
	v_clz_i32_u32_e32 v2, v4
	s_delay_alu instid0(VALU_DEP_1) | instskip(NEXT) | instid1(VALU_DEP_1)
	v_min_u32_e32 v2, 32, v2
	v_subrev_nc_u32_e32 v4, 29, v2
	s_delay_alu instid0(VALU_DEP_1) | instskip(NEXT) | instid1(VALU_DEP_1)
	v_lshlrev_b64_e32 v[4:5], v4, v[64:65]
	v_dual_sub_nc_u32 v2, 30, v2 :: v_dual_bitop2_b32 v4, 3, v4 bitop3:0x40
; %bb.214:                              ;   in Loop: Header=BB2_85 Depth=2
	s_or_b32 exec_lo, exec_lo, s22
	v_lshlrev_b32_e32 v5, 24, v64
	s_delay_alu instid0(VALU_DEP_1) | instskip(NEXT) | instid1(VALU_DEP_1)
	v_and_b32_e32 v5, 0x80000000, v5
	v_lshl_add_u32 v2, v2, 23, v5
                                        ; implicit-def: $vgpr5
	s_delay_alu instid0(VALU_DEP_1) | instskip(NEXT) | instid1(VALU_DEP_1)
	v_lshl_or_b32 v2, v4, 21, v2
                                        ; implicit-def: $vgpr4
	v_add_nc_u32_e32 v2, 0x38000000, v2
.LBB2_215:                              ;   in Loop: Header=BB2_85 Depth=2
	s_and_not1_saveexec_b32 s21, s21
; %bb.216:                              ;   in Loop: Header=BB2_85 Depth=2
	v_cmp_lt_i16_e32 vcc_lo, -1, v5
	v_cndmask_b32_e32 v2, 0xff800000, v21, vcc_lo
	v_cmp_eq_u32_e32 vcc_lo, 0, v4
	s_delay_alu instid0(VALU_DEP_2)
	v_cndmask_b32_e32 v2, 0x7f800001, v2, vcc_lo
; %bb.217:                              ;   in Loop: Header=BB2_85 Depth=2
	s_or_b32 exec_lo, exec_lo, s21
.LBB2_218:                              ;   in Loop: Header=BB2_85 Depth=2
	s_delay_alu instid0(SALU_CYCLE_1)
	s_or_b32 exec_lo, exec_lo, s20
.LBB2_219:                              ;   in Loop: Header=BB2_85 Depth=2
	s_delay_alu instid0(SALU_CYCLE_1) | instskip(NEXT) | instid1(VALU_DEP_1)
	s_or_b32 exec_lo, exec_lo, s8
	v_dual_mul_f32 v116, v56, v2 :: v_dual_mov_b32 v45, v65
	s_delay_alu instid0(VALU_DEP_1) | instskip(SKIP_2) | instid1(VALU_DEP_2)
	v_dual_mov_b32 v5, v65 :: v_dual_lshrrev_b32 v2, 24, v116
	v_and_b32_e32 v44, 0x7f800000, v116
	v_and_b32_e32 v4, 0x7fffff, v116
	v_cmp_ne_u64_e32 vcc_lo, 0x7f800000, v[44:45]
                                        ; implicit-def: $vgpr44
	s_and_saveexec_b32 s8, vcc_lo
	s_delay_alu instid0(SALU_CYCLE_1)
	s_xor_b32 s20, exec_lo, s8
	s_cbranch_execz .LBB2_233
; %bb.220:                              ;   in Loop: Header=BB2_85 Depth=2
	v_and_b32_e32 v44, 0x7fffffff, v116
	v_mov_b32_e32 v45, v65
	v_and_b32_e32 v2, 0x80, v2
	s_delay_alu instid0(VALU_DEP_2) | instskip(SKIP_1) | instid1(SALU_CYCLE_1)
	v_cmp_gt_u64_e32 vcc_lo, 0x47600001, v[44:45]
                                        ; implicit-def: $vgpr44
	s_and_saveexec_b32 s8, vcc_lo
	s_xor_b32 s21, exec_lo, s8
	s_cbranch_execz .LBB2_230
; %bb.221:                              ;   in Loop: Header=BB2_85 Depth=2
	v_mov_b32_e32 v44, 0
	s_mov_b32 s22, exec_lo
	v_cmpx_ne_u32_e32 0, v116
	s_cbranch_execz .LBB2_229
; %bb.222:                              ;   in Loop: Header=BB2_85 Depth=2
	v_bfe_u32 v44, v116, 23, 8
	v_or_b32_e32 v46, 0x800000, v4
	s_delay_alu instid0(VALU_DEP_2) | instskip(SKIP_1) | instid1(VALU_DEP_2)
	v_sub_nc_u32_e32 v116, 0x71, v44
	v_cmp_gt_u32_e32 vcc_lo, 0x72, v44
	v_cndmask_b32_e32 v116, 0, v116, vcc_lo
	v_cmp_eq_u32_e32 vcc_lo, 0, v44
	s_delay_alu instid0(VALU_DEP_2) | instskip(NEXT) | instid1(VALU_DEP_1)
	v_cndmask_b32_e64 v45, v116, 0x70, vcc_lo
	v_dual_cndmask_b32 v4, v46, v4, vcc_lo :: v_dual_add_nc_u32 v116, 21, v45
	v_add_nc_u32_e32 v47, 20, v45
	s_delay_alu instid0(VALU_DEP_2) | instskip(NEXT) | instid1(VALU_DEP_2)
	v_lshlrev_b64_e64 v[116:117], v116, -1
	v_lshlrev_b64_e64 v[46:47], v47, 1
	s_delay_alu instid0(VALU_DEP_2) | instskip(SKIP_1) | instid1(VALU_DEP_4)
	v_bfi_b32 v116, v116, 0, v4
	v_lshrrev_b64 v[4:5], v45, v[4:5]
	v_bfi_b32 v117, v117, 0, 0
	s_delay_alu instid0(VALU_DEP_1) | instskip(NEXT) | instid1(VALU_DEP_3)
	v_cmp_eq_u64_e64 s8, v[116:117], v[46:47]
	v_mov_b64_e32 v[116:117], v[4:5]
	s_and_saveexec_b32 s23, s8
; %bb.223:                              ;   in Loop: Header=BB2_85 Depth=2
	v_bfe_u32 v116, v4, 21, 1
	v_mov_b32_e32 v117, v65
	s_delay_alu instid0(VALU_DEP_1) | instskip(NEXT) | instid1(VALU_DEP_1)
	v_add_nc_u64_e32 v[116:117], v[4:5], v[116:117]
	v_add_nc_u64_e32 v[116:117], -1, v[116:117]
; %bb.224:                              ;   in Loop: Header=BB2_85 Depth=2
	s_or_b32 exec_lo, exec_lo, s23
	v_add_nc_u32_e32 v5, 0xffffff81, v44
	v_lshrrev_b32_e32 v117, 23, v4
	s_mov_b32 s8, exec_lo
	s_delay_alu instid0(VALU_DEP_2) | instskip(NEXT) | instid1(VALU_DEP_1)
	v_cndmask_b32_e64 v5, v5, 0xffffff82, vcc_lo
	v_add3_u32 v117, v45, v5, v117
	v_and_b32_e32 v5, 0x1fffff, v116
                                        ; implicit-def: $vgpr116
	s_delay_alu instid0(VALU_DEP_1) | instskip(SKIP_1) | instid1(VALU_DEP_2)
	v_dual_add_nc_u32 v44, 14, v117 :: v_dual_add_nc_u32 v4, v5, v4
	v_mov_b32_e32 v5, v65
	v_cmpx_ne_u32_e32 0, v44
	s_xor_b32 s8, exec_lo, s8
; %bb.225:                              ;   in Loop: Header=BB2_85 Depth=2
	s_delay_alu instid0(VALU_DEP_2) | instskip(SKIP_2) | instid1(VALU_DEP_2)
	v_cmp_lt_u64_e32 vcc_lo, 0xffffff, v[4:5]
	v_add_nc_u32_e32 v116, 15, v117
	v_cndmask_b32_e64 v117, 0, 1, vcc_lo
	v_cndmask_b32_e32 v116, v44, v116, vcc_lo
	s_delay_alu instid0(VALU_DEP_2)
	v_lshrrev_b64 v[4:5], v117, v[4:5]
; %bb.226:                              ;   in Loop: Header=BB2_85 Depth=2
	s_and_not1_saveexec_b32 s8, s8
; %bb.227:                              ;   in Loop: Header=BB2_85 Depth=2
	s_delay_alu instid0(VALU_DEP_1)
	v_bfe_u32 v116, v4, 23, 1
; %bb.228:                              ;   in Loop: Header=BB2_85 Depth=2
	s_or_b32 exec_lo, exec_lo, s8
	s_delay_alu instid0(VALU_DEP_2) | instskip(NEXT) | instid1(VALU_DEP_2)
	v_lshrrev_b64 v[4:5], 21, v[4:5]
	v_cmp_gt_i32_e32 vcc_lo, 32, v116
	v_min_i32_e32 v117, 31, v116
	v_cmp_eq_u32_e64 s8, 0, v116
	s_delay_alu instid0(VALU_DEP_4) | instskip(NEXT) | instid1(VALU_DEP_3)
	v_cndmask_b32_e32 v5, 0, v5, vcc_lo
	v_dual_cndmask_b32 v4, 3, v4 :: v_dual_lshlrev_b32 v117, 2, v117
	s_delay_alu instid0(VALU_DEP_1) | instskip(NEXT) | instid1(VALU_DEP_2)
	v_and_b32_e32 v117, 0xfc, v117
	v_cmp_eq_u64_e32 vcc_lo, 0, v[4:5]
	s_delay_alu instid0(VALU_DEP_2)
	v_and_or_b32 v4, v4, 3, v117
	s_and_b32 s8, s8, vcc_lo
	s_delay_alu instid0(VALU_DEP_1) | instid1(SALU_CYCLE_1)
	v_cndmask_b32_e64 v4, v4, 0, s8
	s_delay_alu instid0(VALU_DEP_1)
	v_or_b32_e32 v44, v4, v2
.LBB2_229:                              ;   in Loop: Header=BB2_85 Depth=2
	s_or_b32 exec_lo, exec_lo, s22
                                        ; implicit-def: $vgpr2
.LBB2_230:                              ;   in Loop: Header=BB2_85 Depth=2
	s_and_not1_saveexec_b32 s8, s21
; %bb.231:                              ;   in Loop: Header=BB2_85 Depth=2
	v_or_b32_e32 v44, 0x7b, v2
; %bb.232:                              ;   in Loop: Header=BB2_85 Depth=2
	s_or_b32 exec_lo, exec_lo, s8
                                        ; implicit-def: $vgpr116
                                        ; implicit-def: $vgpr4_vgpr5
                                        ; implicit-def: $vgpr2
.LBB2_233:                              ;   in Loop: Header=BB2_85 Depth=2
	s_and_not1_saveexec_b32 s8, s20
	s_cbranch_execz .LBB2_239
; %bb.234:                              ;   in Loop: Header=BB2_85 Depth=2
	s_mov_b32 s20, exec_lo
                                        ; implicit-def: $vgpr44
	v_cmpx_ne_u64_e32 0, v[4:5]
	s_xor_b32 s20, exec_lo, s20
; %bb.235:                              ;   in Loop: Header=BB2_85 Depth=2
	v_or_b32_e32 v44, 0x7f, v2
                                        ; implicit-def: $vgpr116
; %bb.236:                              ;   in Loop: Header=BB2_85 Depth=2
	s_and_not1_saveexec_b32 s20, s20
; %bb.237:                              ;   in Loop: Header=BB2_85 Depth=2
	v_cmp_lt_i32_e32 vcc_lo, -1, v116
	v_cndmask_b32_e32 v44, 0xfc, v59, vcc_lo
; %bb.238:                              ;   in Loop: Header=BB2_85 Depth=2
	s_or_b32 exec_lo, exec_lo, s20
.LBB2_239:                              ;   in Loop: Header=BB2_85 Depth=2
	s_delay_alu instid0(SALU_CYCLE_1) | instskip(SKIP_3) | instid1(VALU_DEP_2)
	s_or_b32 exec_lo, exec_lo, s8
	v_lshrrev_b16 v4, 8, v64
	v_mov_b32_e32 v5, 0
	s_mov_b32 s8, exec_lo
	v_cmpx_ne_u16_e32 0, v4
	s_cbranch_execz .LBB2_249
; %bb.240:                              ;   in Loop: Header=BB2_85 Depth=2
	v_bfrev_b32_e32 v5, 1
	s_mov_b32 s20, exec_lo
	v_cmpx_ne_u16_e32 0x80, v4
	s_cbranch_execz .LBB2_248
; %bb.241:                              ;   in Loop: Header=BB2_85 Depth=2
	v_and_b32_e32 v116, 0xffff, v4
	s_delay_alu instid0(VALU_DEP_1) | instskip(SKIP_1) | instid1(VALU_DEP_2)
	v_and_b32_e32 v5, 0x7c, v116
	v_and_b32_e32 v2, 3, v116
	v_cmp_ne_u32_e32 vcc_lo, 0x7c, v5
                                        ; implicit-def: $vgpr5
	s_and_saveexec_b32 s21, vcc_lo
	s_delay_alu instid0(SALU_CYCLE_1)
	s_xor_b32 s21, exec_lo, s21
	s_cbranch_execz .LBB2_245
; %bb.242:                              ;   in Loop: Header=BB2_85 Depth=2
	v_bfe_u32 v5, v116, 2, 5
	s_mov_b32 s22, exec_lo
	s_delay_alu instid0(VALU_DEP_1)
	v_cmpx_eq_u32_e32 0, v5
; %bb.243:                              ;   in Loop: Header=BB2_85 Depth=2
	v_clz_i32_u32_e32 v2, v2
	v_mov_b32_e32 v5, v65
	s_delay_alu instid0(VALU_DEP_2) | instskip(NEXT) | instid1(VALU_DEP_1)
	v_min_u32_e32 v2, 32, v2
	v_subrev_nc_u32_e32 v116, 29, v2
	s_delay_alu instid0(VALU_DEP_1) | instskip(NEXT) | instid1(VALU_DEP_1)
	v_lshlrev_b64_e32 v[4:5], v116, v[4:5]
	v_dual_sub_nc_u32 v5, 30, v2 :: v_dual_bitop2_b32 v2, 3, v4 bitop3:0x40
; %bb.244:                              ;   in Loop: Header=BB2_85 Depth=2
	s_or_b32 exec_lo, exec_lo, s22
	v_lshlrev_b32_e32 v4, 16, v64
	s_delay_alu instid0(VALU_DEP_1) | instskip(NEXT) | instid1(VALU_DEP_1)
	v_and_b32_e32 v4, 0x80000000, v4
	v_lshl_add_u32 v4, v5, 23, v4
	s_delay_alu instid0(VALU_DEP_1) | instskip(NEXT) | instid1(VALU_DEP_1)
	v_lshl_or_b32 v2, v2, 21, v4
	v_add_nc_u32_e32 v5, 0x38000000, v2
                                        ; implicit-def: $vgpr2
.LBB2_245:                              ;   in Loop: Header=BB2_85 Depth=2
	s_and_not1_saveexec_b32 s21, s21
; %bb.246:                              ;   in Loop: Header=BB2_85 Depth=2
	v_cmp_lt_i16_e32 vcc_lo, -1, v64
	v_cndmask_b32_e32 v4, 0xff800000, v21, vcc_lo
	v_cmp_eq_u32_e32 vcc_lo, 0, v2
	s_delay_alu instid0(VALU_DEP_2)
	v_cndmask_b32_e32 v5, 0x7f800001, v4, vcc_lo
; %bb.247:                              ;   in Loop: Header=BB2_85 Depth=2
	s_or_b32 exec_lo, exec_lo, s21
.LBB2_248:                              ;   in Loop: Header=BB2_85 Depth=2
	s_delay_alu instid0(SALU_CYCLE_1)
	s_or_b32 exec_lo, exec_lo, s20
.LBB2_249:                              ;   in Loop: Header=BB2_85 Depth=2
	s_delay_alu instid0(SALU_CYCLE_1) | instskip(NEXT) | instid1(VALU_DEP_1)
	s_or_b32 exec_lo, exec_lo, s8
	v_dual_mul_f32 v116, v56, v5 :: v_dual_mov_b32 v47, v65
	v_mov_b32_e32 v5, v65
                                        ; implicit-def: $vgpr45
	s_mov_b32 s8, exec_lo
	s_delay_alu instid0(VALU_DEP_2) | instskip(SKIP_2) | instid1(VALU_DEP_3)
	v_and_b32_e32 v46, 0x7f800000, v116
	v_and_b32_e32 v4, 0x7fffff, v116
	v_lshrrev_b32_e32 v2, 24, v116
	v_cmpx_ne_u64_e32 0x7f800000, v[46:47]
	s_xor_b32 s20, exec_lo, s8
	s_cbranch_execz .LBB2_263
; %bb.250:                              ;   in Loop: Header=BB2_85 Depth=2
	v_and_b32_e32 v46, 0x7fffffff, v116
	v_mov_b32_e32 v47, v65
	v_and_b32_e32 v2, 0x80, v2
                                        ; implicit-def: $vgpr45
	s_mov_b32 s8, exec_lo
	s_delay_alu instid0(VALU_DEP_2)
	v_cmpx_gt_u64_e32 0x47600001, v[46:47]
	s_xor_b32 s21, exec_lo, s8
	s_cbranch_execz .LBB2_260
; %bb.251:                              ;   in Loop: Header=BB2_85 Depth=2
	v_mov_b32_e32 v45, 0
	s_mov_b32 s22, exec_lo
	v_cmpx_ne_u32_e32 0, v116
	s_cbranch_execz .LBB2_259
; %bb.252:                              ;   in Loop: Header=BB2_85 Depth=2
	v_bfe_u32 v45, v116, 23, 8
	v_or_b32_e32 v117, 0x800000, v4
	s_delay_alu instid0(VALU_DEP_2) | instskip(SKIP_2) | instid1(VALU_DEP_2)
	v_cmp_gt_u32_e64 s8, 0x72, v45
	v_sub_nc_u32_e32 v116, 0x71, v45
	v_cmp_eq_u32_e32 vcc_lo, 0, v45
	v_cndmask_b32_e64 v116, 0, v116, s8
	s_delay_alu instid0(VALU_DEP_1) | instskip(NEXT) | instid1(VALU_DEP_1)
	v_cndmask_b32_e64 v46, v116, 0x70, vcc_lo
	v_dual_cndmask_b32 v4, v117, v4, vcc_lo :: v_dual_add_nc_u32 v116, 21, v46
	v_add_nc_u32_e32 v47, 20, v46
	s_delay_alu instid0(VALU_DEP_2) | instskip(NEXT) | instid1(VALU_DEP_2)
	v_lshlrev_b64_e64 v[116:117], v116, -1
	v_lshlrev_b64_e64 v[62:63], v47, 1
	s_delay_alu instid0(VALU_DEP_2) | instskip(SKIP_1) | instid1(VALU_DEP_4)
	v_bfi_b32 v116, v116, 0, v4
	v_lshrrev_b64 v[4:5], v46, v[4:5]
	v_bfi_b32 v117, v117, 0, 0
	s_delay_alu instid0(VALU_DEP_1) | instskip(NEXT) | instid1(VALU_DEP_3)
	v_cmp_eq_u64_e64 s8, v[116:117], v[62:63]
	v_mov_b64_e32 v[116:117], v[4:5]
	s_and_saveexec_b32 s23, s8
; %bb.253:                              ;   in Loop: Header=BB2_85 Depth=2
	v_bfe_u32 v116, v4, 21, 1
	v_mov_b32_e32 v117, v65
	s_delay_alu instid0(VALU_DEP_1) | instskip(NEXT) | instid1(VALU_DEP_1)
	v_add_nc_u64_e32 v[116:117], v[4:5], v[116:117]
	v_add_nc_u64_e32 v[116:117], -1, v[116:117]
; %bb.254:                              ;   in Loop: Header=BB2_85 Depth=2
	s_or_b32 exec_lo, exec_lo, s23
	v_add_nc_u32_e32 v5, 0xffffff81, v45
	v_lshrrev_b32_e32 v117, 23, v4
	s_mov_b32 s8, exec_lo
	s_delay_alu instid0(VALU_DEP_2) | instskip(NEXT) | instid1(VALU_DEP_1)
	v_cndmask_b32_e64 v5, v5, 0xffffff82, vcc_lo
	v_add3_u32 v117, v46, v5, v117
	v_and_b32_e32 v5, 0x1fffff, v116
                                        ; implicit-def: $vgpr116
	s_delay_alu instid0(VALU_DEP_1) | instskip(SKIP_1) | instid1(VALU_DEP_2)
	v_dual_add_nc_u32 v45, 14, v117 :: v_dual_add_nc_u32 v4, v5, v4
	v_mov_b32_e32 v5, v65
	v_cmpx_ne_u32_e32 0, v45
	s_xor_b32 s8, exec_lo, s8
; %bb.255:                              ;   in Loop: Header=BB2_85 Depth=2
	s_delay_alu instid0(VALU_DEP_2) | instskip(SKIP_2) | instid1(VALU_DEP_2)
	v_cmp_lt_u64_e32 vcc_lo, 0xffffff, v[4:5]
	v_add_nc_u32_e32 v116, 15, v117
	v_cndmask_b32_e64 v117, 0, 1, vcc_lo
	v_cndmask_b32_e32 v116, v45, v116, vcc_lo
	s_delay_alu instid0(VALU_DEP_2)
	v_lshrrev_b64 v[4:5], v117, v[4:5]
; %bb.256:                              ;   in Loop: Header=BB2_85 Depth=2
	s_and_not1_saveexec_b32 s8, s8
; %bb.257:                              ;   in Loop: Header=BB2_85 Depth=2
	s_delay_alu instid0(VALU_DEP_1)
	v_bfe_u32 v116, v4, 23, 1
; %bb.258:                              ;   in Loop: Header=BB2_85 Depth=2
	s_or_b32 exec_lo, exec_lo, s8
	s_delay_alu instid0(VALU_DEP_2) | instskip(NEXT) | instid1(VALU_DEP_2)
	v_lshrrev_b64 v[4:5], 21, v[4:5]
	v_cmp_gt_i32_e32 vcc_lo, 32, v116
	v_min_i32_e32 v117, 31, v116
	v_cmp_eq_u32_e64 s8, 0, v116
	s_delay_alu instid0(VALU_DEP_4) | instskip(NEXT) | instid1(VALU_DEP_3)
	v_cndmask_b32_e32 v5, 0, v5, vcc_lo
	v_dual_cndmask_b32 v4, 3, v4 :: v_dual_lshlrev_b32 v117, 2, v117
	s_delay_alu instid0(VALU_DEP_1) | instskip(NEXT) | instid1(VALU_DEP_2)
	v_and_b32_e32 v117, 0xfc, v117
	v_cmp_eq_u64_e32 vcc_lo, 0, v[4:5]
	s_delay_alu instid0(VALU_DEP_2)
	v_and_or_b32 v4, v4, 3, v117
	s_and_b32 s8, s8, vcc_lo
	s_delay_alu instid0(VALU_DEP_1) | instid1(SALU_CYCLE_1)
	v_cndmask_b32_e64 v4, v4, 0, s8
	s_delay_alu instid0(VALU_DEP_1)
	v_or_b32_e32 v45, v4, v2
.LBB2_259:                              ;   in Loop: Header=BB2_85 Depth=2
	s_or_b32 exec_lo, exec_lo, s22
                                        ; implicit-def: $vgpr2
.LBB2_260:                              ;   in Loop: Header=BB2_85 Depth=2
	s_and_not1_saveexec_b32 s8, s21
; %bb.261:                              ;   in Loop: Header=BB2_85 Depth=2
	v_or_b32_e32 v45, 0x7b, v2
; %bb.262:                              ;   in Loop: Header=BB2_85 Depth=2
	s_or_b32 exec_lo, exec_lo, s8
                                        ; implicit-def: $vgpr116
                                        ; implicit-def: $vgpr4_vgpr5
                                        ; implicit-def: $vgpr2
.LBB2_263:                              ;   in Loop: Header=BB2_85 Depth=2
	s_and_not1_saveexec_b32 s8, s20
	s_cbranch_execz .LBB2_269
; %bb.264:                              ;   in Loop: Header=BB2_85 Depth=2
	s_mov_b32 s20, exec_lo
                                        ; implicit-def: $vgpr45
	v_cmpx_ne_u64_e32 0, v[4:5]
	s_xor_b32 s20, exec_lo, s20
; %bb.265:                              ;   in Loop: Header=BB2_85 Depth=2
	v_or_b32_e32 v45, 0x7f, v2
                                        ; implicit-def: $vgpr116
; %bb.266:                              ;   in Loop: Header=BB2_85 Depth=2
	s_and_not1_saveexec_b32 s20, s20
; %bb.267:                              ;   in Loop: Header=BB2_85 Depth=2
	v_cmp_lt_i32_e32 vcc_lo, -1, v116
	v_cndmask_b32_e32 v45, 0xfc, v59, vcc_lo
; %bb.268:                              ;   in Loop: Header=BB2_85 Depth=2
	s_or_b32 exec_lo, exec_lo, s20
.LBB2_269:                              ;   in Loop: Header=BB2_85 Depth=2
	s_delay_alu instid0(SALU_CYCLE_1) | instskip(SKIP_2) | instid1(VALU_DEP_1)
	s_or_b32 exec_lo, exec_lo, s8
	v_dual_lshrrev_b32 v2, 16, v64 :: v_dual_mov_b32 v4, 0
	s_mov_b32 s8, exec_lo
	v_and_b32_e32 v5, 0xff, v2
	s_delay_alu instid0(VALU_DEP_1)
	v_cmpx_ne_u16_e32 0, v5
	s_cbranch_execz .LBB2_279
; %bb.270:                              ;   in Loop: Header=BB2_85 Depth=2
	v_bfrev_b32_e32 v4, 1
	s_mov_b32 s20, exec_lo
	v_cmpx_ne_u16_e32 0x80, v5
	s_cbranch_execz .LBB2_278
; %bb.271:                              ;   in Loop: Header=BB2_85 Depth=2
	v_and_b32_e32 v4, 0x7c0000, v64
	v_bfe_u32 v5, v64, 16, 2
	s_delay_alu instid0(VALU_DEP_2) | instskip(SKIP_1) | instid1(SALU_CYCLE_1)
	v_cmp_ne_u32_e32 vcc_lo, 0x7c0000, v4
                                        ; implicit-def: $vgpr4
	s_and_saveexec_b32 s21, vcc_lo
	s_xor_b32 s21, exec_lo, s21
	s_cbranch_execz .LBB2_275
; %bb.272:                              ;   in Loop: Header=BB2_85 Depth=2
	v_bfe_u32 v4, v64, 18, 5
	s_mov_b32 s22, exec_lo
	s_delay_alu instid0(VALU_DEP_1)
	v_cmpx_eq_u32_e32 0, v4
; %bb.273:                              ;   in Loop: Header=BB2_85 Depth=2
	v_clz_i32_u32_e32 v4, v5
	s_delay_alu instid0(VALU_DEP_1) | instskip(NEXT) | instid1(VALU_DEP_1)
	v_min_u32_e32 v4, 32, v4
	v_subrev_nc_u32_e32 v5, 29, v4
	v_sub_nc_u32_e32 v4, 30, v4
	s_delay_alu instid0(VALU_DEP_2) | instskip(NEXT) | instid1(VALU_DEP_1)
	v_lshlrev_b64_e32 v[116:117], v5, v[2:3]
	v_and_b32_e32 v5, 3, v116
; %bb.274:                              ;   in Loop: Header=BB2_85 Depth=2
	s_or_b32 exec_lo, exec_lo, s22
	v_lshlrev_b32_e32 v2, 24, v2
	s_delay_alu instid0(VALU_DEP_1) | instskip(NEXT) | instid1(VALU_DEP_1)
	v_and_b32_e32 v2, 0x80000000, v2
	v_lshl_add_u32 v2, v4, 23, v2
	s_delay_alu instid0(VALU_DEP_1) | instskip(NEXT) | instid1(VALU_DEP_1)
	v_lshl_or_b32 v2, v5, 21, v2
                                        ; implicit-def: $vgpr5
	v_add_nc_u32_e32 v4, 0x38000000, v2
                                        ; implicit-def: $vgpr2
.LBB2_275:                              ;   in Loop: Header=BB2_85 Depth=2
	s_and_not1_saveexec_b32 s21, s21
; %bb.276:                              ;   in Loop: Header=BB2_85 Depth=2
	v_bfe_i32 v2, v2, 0, 8
	s_delay_alu instid0(VALU_DEP_1) | instskip(SKIP_2) | instid1(VALU_DEP_2)
	v_cmp_lt_i16_e32 vcc_lo, -1, v2
	v_cndmask_b32_e32 v2, 0xff800000, v21, vcc_lo
	v_cmp_eq_u32_e32 vcc_lo, 0, v5
	v_cndmask_b32_e32 v4, 0x7f800001, v2, vcc_lo
; %bb.277:                              ;   in Loop: Header=BB2_85 Depth=2
	s_or_b32 exec_lo, exec_lo, s21
.LBB2_278:                              ;   in Loop: Header=BB2_85 Depth=2
	s_delay_alu instid0(SALU_CYCLE_1)
	s_or_b32 exec_lo, exec_lo, s20
.LBB2_279:                              ;   in Loop: Header=BB2_85 Depth=2
	s_delay_alu instid0(SALU_CYCLE_1) | instskip(NEXT) | instid1(VALU_DEP_1)
	s_or_b32 exec_lo, exec_lo, s8
	v_dual_mul_f32 v116, v56, v4 :: v_dual_mov_b32 v47, v65
	s_delay_alu instid0(VALU_DEP_1) | instskip(SKIP_2) | instid1(VALU_DEP_2)
	v_dual_mov_b32 v5, v65 :: v_dual_lshrrev_b32 v2, 24, v116
	v_and_b32_e32 v46, 0x7f800000, v116
	v_and_b32_e32 v4, 0x7fffff, v116
	v_cmp_ne_u64_e32 vcc_lo, 0x7f800000, v[46:47]
                                        ; implicit-def: $vgpr46
	s_and_saveexec_b32 s8, vcc_lo
	s_delay_alu instid0(SALU_CYCLE_1)
	s_xor_b32 s20, exec_lo, s8
	s_cbranch_execz .LBB2_293
; %bb.280:                              ;   in Loop: Header=BB2_85 Depth=2
	v_and_b32_e32 v46, 0x7fffffff, v116
	v_mov_b32_e32 v47, v65
	v_and_b32_e32 v2, 0x80, v2
	s_delay_alu instid0(VALU_DEP_2) | instskip(SKIP_1) | instid1(SALU_CYCLE_1)
	v_cmp_gt_u64_e32 vcc_lo, 0x47600001, v[46:47]
                                        ; implicit-def: $vgpr46
	s_and_saveexec_b32 s8, vcc_lo
	s_xor_b32 s21, exec_lo, s8
	s_cbranch_execz .LBB2_290
; %bb.281:                              ;   in Loop: Header=BB2_85 Depth=2
	v_mov_b32_e32 v46, 0
	s_mov_b32 s22, exec_lo
	v_cmpx_ne_u32_e32 0, v116
	s_cbranch_execz .LBB2_289
; %bb.282:                              ;   in Loop: Header=BB2_85 Depth=2
	v_bfe_u32 v46, v116, 23, 8
	v_or_b32_e32 v62, 0x800000, v4
	s_delay_alu instid0(VALU_DEP_2) | instskip(SKIP_2) | instid1(VALU_DEP_2)
	v_sub_nc_u32_e32 v116, 0x71, v46
	v_cmp_gt_u32_e64 s8, 0x72, v46
	v_cmp_eq_u32_e32 vcc_lo, 0, v46
	v_cndmask_b32_e64 v116, 0, v116, s8
	v_cndmask_b32_e32 v4, v62, v4, vcc_lo
	s_delay_alu instid0(VALU_DEP_2) | instskip(NEXT) | instid1(VALU_DEP_1)
	v_cndmask_b32_e64 v47, v116, 0x70, vcc_lo
	v_dual_add_nc_u32 v116, 21, v47 :: v_dual_add_nc_u32 v63, 20, v47
	s_delay_alu instid0(VALU_DEP_1) | instskip(NEXT) | instid1(VALU_DEP_2)
	v_lshlrev_b64_e64 v[116:117], v116, -1
	v_lshlrev_b64_e64 v[62:63], v63, 1
	s_delay_alu instid0(VALU_DEP_2) | instskip(SKIP_1) | instid1(VALU_DEP_4)
	v_bfi_b32 v116, v116, 0, v4
	v_lshrrev_b64 v[4:5], v47, v[4:5]
	v_bfi_b32 v117, v117, 0, 0
	s_delay_alu instid0(VALU_DEP_1) | instskip(NEXT) | instid1(VALU_DEP_3)
	v_cmp_eq_u64_e64 s8, v[116:117], v[62:63]
	v_mov_b64_e32 v[116:117], v[4:5]
	s_and_saveexec_b32 s23, s8
; %bb.283:                              ;   in Loop: Header=BB2_85 Depth=2
	v_bfe_u32 v116, v4, 21, 1
	v_mov_b32_e32 v117, v65
	s_delay_alu instid0(VALU_DEP_1) | instskip(NEXT) | instid1(VALU_DEP_1)
	v_add_nc_u64_e32 v[116:117], v[4:5], v[116:117]
	v_add_nc_u64_e32 v[116:117], -1, v[116:117]
; %bb.284:                              ;   in Loop: Header=BB2_85 Depth=2
	s_or_b32 exec_lo, exec_lo, s23
	v_add_nc_u32_e32 v5, 0xffffff81, v46
	v_lshrrev_b32_e32 v117, 23, v4
	s_mov_b32 s8, exec_lo
	s_delay_alu instid0(VALU_DEP_2) | instskip(NEXT) | instid1(VALU_DEP_1)
	v_cndmask_b32_e64 v5, v5, 0xffffff82, vcc_lo
	v_add3_u32 v117, v47, v5, v117
	v_and_b32_e32 v5, 0x1fffff, v116
                                        ; implicit-def: $vgpr116
	s_delay_alu instid0(VALU_DEP_1) | instskip(SKIP_1) | instid1(VALU_DEP_2)
	v_dual_add_nc_u32 v46, 14, v117 :: v_dual_add_nc_u32 v4, v5, v4
	v_mov_b32_e32 v5, v65
	v_cmpx_ne_u32_e32 0, v46
	s_xor_b32 s8, exec_lo, s8
; %bb.285:                              ;   in Loop: Header=BB2_85 Depth=2
	s_delay_alu instid0(VALU_DEP_2) | instskip(SKIP_2) | instid1(VALU_DEP_2)
	v_cmp_lt_u64_e32 vcc_lo, 0xffffff, v[4:5]
	v_add_nc_u32_e32 v116, 15, v117
	v_cndmask_b32_e64 v117, 0, 1, vcc_lo
	v_cndmask_b32_e32 v116, v46, v116, vcc_lo
	s_delay_alu instid0(VALU_DEP_2)
	v_lshrrev_b64 v[4:5], v117, v[4:5]
; %bb.286:                              ;   in Loop: Header=BB2_85 Depth=2
	s_and_not1_saveexec_b32 s8, s8
; %bb.287:                              ;   in Loop: Header=BB2_85 Depth=2
	s_delay_alu instid0(VALU_DEP_1)
	v_bfe_u32 v116, v4, 23, 1
; %bb.288:                              ;   in Loop: Header=BB2_85 Depth=2
	s_or_b32 exec_lo, exec_lo, s8
	s_delay_alu instid0(VALU_DEP_2) | instskip(NEXT) | instid1(VALU_DEP_2)
	v_lshrrev_b64 v[4:5], 21, v[4:5]
	v_cmp_gt_i32_e32 vcc_lo, 32, v116
	v_min_i32_e32 v117, 31, v116
	v_cmp_eq_u32_e64 s8, 0, v116
	s_delay_alu instid0(VALU_DEP_4) | instskip(NEXT) | instid1(VALU_DEP_3)
	v_cndmask_b32_e32 v5, 0, v5, vcc_lo
	v_dual_cndmask_b32 v4, 3, v4 :: v_dual_lshlrev_b32 v117, 2, v117
	s_delay_alu instid0(VALU_DEP_1) | instskip(NEXT) | instid1(VALU_DEP_2)
	v_and_b32_e32 v117, 0xfc, v117
	v_cmp_eq_u64_e32 vcc_lo, 0, v[4:5]
	s_delay_alu instid0(VALU_DEP_2)
	v_and_or_b32 v4, v4, 3, v117
	s_and_b32 s8, s8, vcc_lo
	s_delay_alu instid0(VALU_DEP_1) | instid1(SALU_CYCLE_1)
	v_cndmask_b32_e64 v4, v4, 0, s8
	s_delay_alu instid0(VALU_DEP_1)
	v_or_b32_e32 v46, v4, v2
.LBB2_289:                              ;   in Loop: Header=BB2_85 Depth=2
	s_or_b32 exec_lo, exec_lo, s22
                                        ; implicit-def: $vgpr2
.LBB2_290:                              ;   in Loop: Header=BB2_85 Depth=2
	s_and_not1_saveexec_b32 s8, s21
; %bb.291:                              ;   in Loop: Header=BB2_85 Depth=2
	v_or_b32_e32 v46, 0x7b, v2
; %bb.292:                              ;   in Loop: Header=BB2_85 Depth=2
	s_or_b32 exec_lo, exec_lo, s8
                                        ; implicit-def: $vgpr116
                                        ; implicit-def: $vgpr4_vgpr5
                                        ; implicit-def: $vgpr2
.LBB2_293:                              ;   in Loop: Header=BB2_85 Depth=2
	s_and_not1_saveexec_b32 s8, s20
	s_cbranch_execz .LBB2_299
; %bb.294:                              ;   in Loop: Header=BB2_85 Depth=2
	s_mov_b32 s20, exec_lo
                                        ; implicit-def: $vgpr46
	v_cmpx_ne_u64_e32 0, v[4:5]
	s_xor_b32 s20, exec_lo, s20
; %bb.295:                              ;   in Loop: Header=BB2_85 Depth=2
	v_or_b32_e32 v46, 0x7f, v2
                                        ; implicit-def: $vgpr116
; %bb.296:                              ;   in Loop: Header=BB2_85 Depth=2
	s_and_not1_saveexec_b32 s20, s20
; %bb.297:                              ;   in Loop: Header=BB2_85 Depth=2
	v_cmp_lt_i32_e32 vcc_lo, -1, v116
	v_cndmask_b32_e32 v46, 0xfc, v59, vcc_lo
; %bb.298:                              ;   in Loop: Header=BB2_85 Depth=2
	s_or_b32 exec_lo, exec_lo, s20
.LBB2_299:                              ;   in Loop: Header=BB2_85 Depth=2
	s_delay_alu instid0(SALU_CYCLE_1)
	s_or_b32 exec_lo, exec_lo, s8
	v_mov_b32_e32 v4, 0
	s_mov_b32 s8, exec_lo
	v_cmpx_lt_u32_e32 0xffffff, v64
	s_cbranch_execz .LBB2_309
; %bb.300:                              ;   in Loop: Header=BB2_85 Depth=2
	v_lshrrev_b32_e32 v2, 24, v64
	v_bfrev_b32_e32 v4, 1
	s_mov_b32 s20, exec_lo
	s_delay_alu instid0(VALU_DEP_2)
	v_cmpx_ne_u32_e32 0x80, v2
	s_cbranch_execz .LBB2_308
; %bb.301:                              ;   in Loop: Header=BB2_85 Depth=2
	v_and_b32_e32 v4, 0x7c000000, v64
	v_bfe_u32 v5, v64, 24, 2
	s_delay_alu instid0(VALU_DEP_2) | instskip(SKIP_1) | instid1(SALU_CYCLE_1)
	v_cmp_ne_u32_e32 vcc_lo, 0x7c000000, v4
                                        ; implicit-def: $vgpr4
	s_and_saveexec_b32 s21, vcc_lo
	s_xor_b32 s21, exec_lo, s21
	s_cbranch_execz .LBB2_305
; %bb.302:                              ;   in Loop: Header=BB2_85 Depth=2
	v_bfe_u32 v4, v64, 26, 5
	s_mov_b32 s22, exec_lo
	s_delay_alu instid0(VALU_DEP_1)
	v_cmpx_eq_u32_e32 0, v4
; %bb.303:                              ;   in Loop: Header=BB2_85 Depth=2
	v_clz_i32_u32_e32 v4, v5
	s_delay_alu instid0(VALU_DEP_1) | instskip(NEXT) | instid1(VALU_DEP_1)
	v_min_u32_e32 v4, 32, v4
	v_subrev_nc_u32_e32 v5, 29, v4
	v_sub_nc_u32_e32 v4, 30, v4
	s_delay_alu instid0(VALU_DEP_2) | instskip(NEXT) | instid1(VALU_DEP_1)
	v_lshlrev_b64_e32 v[116:117], v5, v[2:3]
	v_and_b32_e32 v5, 3, v116
; %bb.304:                              ;   in Loop: Header=BB2_85 Depth=2
	s_or_b32 exec_lo, exec_lo, s22
	v_and_b32_e32 v2, 0x80000000, v64
	s_delay_alu instid0(VALU_DEP_1) | instskip(NEXT) | instid1(VALU_DEP_1)
	v_lshl_add_u32 v2, v4, 23, v2
	v_lshl_or_b32 v2, v5, 21, v2
                                        ; implicit-def: $vgpr5
	s_delay_alu instid0(VALU_DEP_1)
	v_add_nc_u32_e32 v4, 0x38000000, v2
.LBB2_305:                              ;   in Loop: Header=BB2_85 Depth=2
	s_and_not1_saveexec_b32 s21, s21
; %bb.306:                              ;   in Loop: Header=BB2_85 Depth=2
	v_cmp_lt_i32_e32 vcc_lo, -1, v64
	v_cndmask_b32_e32 v2, 0xff800000, v21, vcc_lo
	v_cmp_eq_u32_e32 vcc_lo, 0, v5
	s_delay_alu instid0(VALU_DEP_2)
	v_cndmask_b32_e32 v4, 0x7f800001, v2, vcc_lo
; %bb.307:                              ;   in Loop: Header=BB2_85 Depth=2
	s_or_b32 exec_lo, exec_lo, s21
.LBB2_308:                              ;   in Loop: Header=BB2_85 Depth=2
	s_delay_alu instid0(SALU_CYCLE_1)
	s_or_b32 exec_lo, exec_lo, s20
.LBB2_309:                              ;   in Loop: Header=BB2_85 Depth=2
	s_delay_alu instid0(SALU_CYCLE_1) | instskip(NEXT) | instid1(VALU_DEP_1)
	s_or_b32 exec_lo, exec_lo, s8
	v_dual_mul_f32 v5, v56, v4 :: v_dual_mov_b32 v117, v65
                                        ; implicit-def: $vgpr4
	s_mov_b32 s8, exec_lo
	s_delay_alu instid0(VALU_DEP_1) | instskip(SKIP_2) | instid1(VALU_DEP_3)
	v_and_b32_e32 v116, 0x7f800000, v5
	v_and_b32_e32 v64, 0x7fffff, v5
	v_lshrrev_b32_e32 v2, 24, v5
	v_cmpx_ne_u64_e32 0x7f800000, v[116:117]
	s_xor_b32 s20, exec_lo, s8
	s_cbranch_execz .LBB2_323
; %bb.310:                              ;   in Loop: Header=BB2_85 Depth=2
	v_and_b32_e32 v116, 0x7fffffff, v5
	v_mov_b32_e32 v117, v65
	v_and_b32_e32 v2, 0x80, v2
                                        ; implicit-def: $vgpr4
	s_mov_b32 s8, exec_lo
	s_delay_alu instid0(VALU_DEP_2)
	v_cmpx_gt_u64_e32 0x47600001, v[116:117]
	s_xor_b32 s21, exec_lo, s8
	s_cbranch_execz .LBB2_320
; %bb.311:                              ;   in Loop: Header=BB2_85 Depth=2
	v_mov_b32_e32 v4, 0
	s_mov_b32 s22, exec_lo
	v_cmpx_ne_u32_e32 0, v5
	s_cbranch_execz .LBB2_319
; %bb.312:                              ;   in Loop: Header=BB2_85 Depth=2
	v_bfe_u32 v47, v5, 23, 8
	v_or_b32_e32 v116, 0x800000, v64
	s_delay_alu instid0(VALU_DEP_2) | instskip(SKIP_1) | instid1(VALU_DEP_2)
	v_sub_nc_u32_e32 v4, 0x71, v47
	v_cmp_gt_u32_e32 vcc_lo, 0x72, v47
	v_cndmask_b32_e32 v4, 0, v4, vcc_lo
	v_cmp_eq_u32_e32 vcc_lo, 0, v47
	s_delay_alu instid0(VALU_DEP_2) | instskip(NEXT) | instid1(VALU_DEP_1)
	v_cndmask_b32_e64 v62, v4, 0x70, vcc_lo
	v_dual_cndmask_b32 v64, v116, v64, vcc_lo :: v_dual_add_nc_u32 v4, 21, v62
	v_add_nc_u32_e32 v117, 20, v62
	s_delay_alu instid0(VALU_DEP_2) | instskip(NEXT) | instid1(VALU_DEP_2)
	v_lshlrev_b64_e64 v[4:5], v4, -1
	v_lshlrev_b64_e64 v[116:117], v117, 1
	s_delay_alu instid0(VALU_DEP_2) | instskip(NEXT) | instid1(VALU_DEP_3)
	v_bfi_b32 v73, v5, 0, 0
	v_bfi_b32 v72, v4, 0, v64
	v_lshrrev_b64 v[4:5], v62, v[64:65]
	s_delay_alu instid0(VALU_DEP_2) | instskip(NEXT) | instid1(VALU_DEP_2)
	v_cmp_eq_u64_e64 s8, v[72:73], v[116:117]
	v_mov_b64_e32 v[116:117], v[4:5]
	s_and_saveexec_b32 s23, s8
; %bb.313:                              ;   in Loop: Header=BB2_85 Depth=2
	v_bfe_u32 v64, v4, 21, 1
	s_delay_alu instid0(VALU_DEP_1) | instskip(NEXT) | instid1(VALU_DEP_1)
	v_add_nc_u64_e32 v[116:117], v[4:5], v[64:65]
	v_add_nc_u64_e32 v[116:117], -1, v[116:117]
; %bb.314:                              ;   in Loop: Header=BB2_85 Depth=2
	s_or_b32 exec_lo, exec_lo, s23
	v_add_nc_u32_e32 v5, 0xffffff81, v47
	v_lshrrev_b32_e32 v64, 23, v4
	s_mov_b32 s8, exec_lo
	s_delay_alu instid0(VALU_DEP_2) | instskip(NEXT) | instid1(VALU_DEP_1)
	v_cndmask_b32_e64 v5, v5, 0xffffff82, vcc_lo
	v_add3_u32 v117, v62, v5, v64
	v_and_b32_e32 v5, 0x1fffff, v116
                                        ; implicit-def: $vgpr116
	s_delay_alu instid0(VALU_DEP_1) | instskip(NEXT) | instid1(VALU_DEP_1)
	v_dual_add_nc_u32 v47, 14, v117 :: v_dual_add_nc_u32 v64, v5, v4
                                        ; implicit-def: $vgpr4_vgpr5
	v_cmpx_ne_u32_e32 0, v47
	s_xor_b32 s8, exec_lo, s8
; %bb.315:                              ;   in Loop: Header=BB2_85 Depth=2
	s_delay_alu instid0(VALU_DEP_2) | instskip(SKIP_1) | instid1(VALU_DEP_1)
	v_cmp_lt_u64_e32 vcc_lo, 0xffffff, v[64:65]
	v_add_nc_u32_e32 v4, 15, v117
	v_cndmask_b32_e32 v116, v47, v4, vcc_lo
	v_cndmask_b32_e64 v4, 0, 1, vcc_lo
	s_delay_alu instid0(VALU_DEP_1)
	v_lshrrev_b64 v[4:5], v4, v[64:65]
; %bb.316:                              ;   in Loop: Header=BB2_85 Depth=2
	s_and_not1_saveexec_b32 s8, s8
; %bb.317:                              ;   in Loop: Header=BB2_85 Depth=2
	v_mov_b64_e32 v[4:5], v[64:65]
	v_bfe_u32 v116, v64, 23, 1
; %bb.318:                              ;   in Loop: Header=BB2_85 Depth=2
	s_or_b32 exec_lo, exec_lo, s8
	s_delay_alu instid0(VALU_DEP_2) | instskip(NEXT) | instid1(VALU_DEP_2)
	v_lshrrev_b64 v[4:5], 21, v[4:5]
	v_cmp_gt_i32_e32 vcc_lo, 32, v116
	v_min_i32_e32 v64, 31, v116
	v_cmp_eq_u32_e64 s8, 0, v116
	s_delay_alu instid0(VALU_DEP_2) | instskip(SKIP_1) | instid1(VALU_DEP_2)
	v_dual_cndmask_b32 v5, 0, v5 :: v_dual_lshlrev_b32 v64, 2, v64
	v_cndmask_b32_e32 v4, 3, v4, vcc_lo
	v_and_b32_e32 v64, 0xfc, v64
	s_delay_alu instid0(VALU_DEP_2) | instskip(NEXT) | instid1(VALU_DEP_2)
	v_cmp_eq_u64_e32 vcc_lo, 0, v[4:5]
	v_and_or_b32 v4, v4, 3, v64
	s_and_b32 s8, s8, vcc_lo
	s_delay_alu instid0(VALU_DEP_1) | instid1(SALU_CYCLE_1)
	v_cndmask_b32_e64 v4, v4, 0, s8
	s_delay_alu instid0(VALU_DEP_1)
	v_or_b32_e32 v4, v4, v2
.LBB2_319:                              ;   in Loop: Header=BB2_85 Depth=2
	s_or_b32 exec_lo, exec_lo, s22
                                        ; implicit-def: $vgpr2
.LBB2_320:                              ;   in Loop: Header=BB2_85 Depth=2
	s_and_not1_saveexec_b32 s8, s21
; %bb.321:                              ;   in Loop: Header=BB2_85 Depth=2
	v_or_b32_e32 v4, 0x7b, v2
; %bb.322:                              ;   in Loop: Header=BB2_85 Depth=2
	s_or_b32 exec_lo, exec_lo, s8
                                        ; implicit-def: $vgpr5
                                        ; implicit-def: $vgpr2
.LBB2_323:                              ;   in Loop: Header=BB2_85 Depth=2
	s_and_not1_saveexec_b32 s8, s20
	s_cbranch_execz .LBB2_84
; %bb.324:                              ;   in Loop: Header=BB2_85 Depth=2
	s_mov_b32 s20, exec_lo
                                        ; implicit-def: $vgpr4
	v_cmpx_ne_u64_e32 0, v[64:65]
	s_xor_b32 s20, exec_lo, s20
; %bb.325:                              ;   in Loop: Header=BB2_85 Depth=2
	v_or_b32_e32 v4, 0x7f, v2
                                        ; implicit-def: $vgpr5
; %bb.326:                              ;   in Loop: Header=BB2_85 Depth=2
	s_and_not1_saveexec_b32 s20, s20
	s_cbranch_execz .LBB2_83
; %bb.327:                              ;   in Loop: Header=BB2_85 Depth=2
	v_cmp_lt_i32_e32 vcc_lo, -1, v5
	v_cndmask_b32_e32 v4, 0xfc, v59, vcc_lo
	s_branch .LBB2_83
.LBB2_328:                              ;   in Loop: Header=BB2_46 Depth=1
	s_or_b32 exec_lo, exec_lo, s19
.LBB2_329:                              ;   in Loop: Header=BB2_46 Depth=1
	s_delay_alu instid0(SALU_CYCLE_1) | instskip(SKIP_2) | instid1(VALU_DEP_2)
	s_or_b32 exec_lo, exec_lo, s18
	v_and_b32_e32 v64, 0x7ffffff8, v16
	v_cmp_gt_i32_e64 s8, s15, v18
	v_cmp_eq_u64_e32 vcc_lo, 0x7ffffff8, v[64:65]
	s_and_b32 s18, vcc_lo, s8
	s_delay_alu instid0(SALU_CYCLE_1)
	s_and_saveexec_b32 s8, s18
	s_cbranch_execz .LBB2_332
; %bb.330:                              ;   in Loop: Header=BB2_46 Depth=1
	v_mul_lo_u32 v4, v19, s15
	v_mov_b32_e32 v2, v65
	s_mov_b32 s18, 0
	s_delay_alu instid0(VALU_DEP_2) | instskip(NEXT) | instid1(VALU_DEP_1)
	v_dual_ashrrev_i32 v19, 31, v18 :: v_dual_ashrrev_i32 v5, 31, v4
	v_lshlrev_b64_e32 v[4:5], 4, v[4:5]
	s_delay_alu instid0(VALU_DEP_1) | instskip(NEXT) | instid1(VALU_DEP_1)
	v_lshl_add_u64 v[4:5], v[18:19], 4, v[4:5]
	v_add_nc_u64_e32 v[112:113], v[36:37], v[4:5]
.LBB2_331:                              ;   Parent Loop BB2_46 Depth=1
                                        ; =>  This Inner Loop Header: Depth=2
	v_dual_mov_b32 v4, v2 :: v_dual_mov_b32 v5, v3
	v_add_nc_u32_e32 v18, v18, v20
	global_store_b128 v[112:113], v[2:5], off
	v_cmp_le_i32_e32 vcc_lo, s15, v18
	s_wait_xcnt 0x0
	v_add_nc_u64_e32 v[112:113], v[112:113], v[102:103]
	s_or_b32 s18, vcc_lo, s18
	s_delay_alu instid0(SALU_CYCLE_1)
	s_and_not1_b32 exec_lo, exec_lo, s18
	s_cbranch_execnz .LBB2_331
.LBB2_332:                              ;   in Loop: Header=BB2_46 Depth=1
	s_or_b32 exec_lo, exec_lo, s8
	v_add_nc_u64_e32 v[112:113], v[80:81], v[24:25]
	s_wait_loadcnt_dscnt 0x0
	v_add_nc_u64_e32 v[114:115], 1, v[16:17]
	s_and_not1_b32 vcc_lo, exec_lo, s17
	s_cbranch_vccnz .LBB2_974
; %bb.333:                              ;   in Loop: Header=BB2_46 Depth=1
	s_delay_alu instid0(VALU_DEP_2)
	v_add_nc_u64_e32 v[116:117], v[96:97], v[112:113]
	v_add_nc_u16 v62, v16, 1
	s_mov_b32 s18, 2
	s_branch .LBB2_335
.LBB2_334:                              ;   in Loop: Header=BB2_335 Depth=2
	s_or_b32 exec_lo, exec_lo, s8
	v_add_nc_u64_e32 v[34:35], 1, v[34:35]
	v_add_nc_u64_e32 v[114:115], 1, v[114:115]
	v_add_nc_u16 v62, v62, 1
	s_add_co_i32 s18, s18, 1
	s_delay_alu instid0(SALU_CYCLE_1)
	s_cmp_eq_u32 s18, s10
	s_cbranch_scc1 .LBB2_974
.LBB2_335:                              ;   Parent Loop BB2_46 Depth=1
                                        ; =>  This Loop Header: Depth=2
                                        ;       Child Loop BB2_340 Depth 3
                                        ;       Child Loop BB2_359 Depth 3
	;; [unrolled: 1-line block ×3, first 2 shown]
                                        ;         Child Loop BB2_388 Depth 4
                                        ;       Child Loop BB2_963 Depth 3
                                        ;       Child Loop BB2_376 Depth 3
	s_sub_co_i32 s8, s10, s18
	v_readfirstlane_b32 s20, v22
	v_mov_b32_e32 v2, s8
	v_readfirstlane_b32 s21, v23
	flat_load_b32 v4, v2, s[20:21] scale_offset
	s_wait_xcnt 0x0
	s_and_saveexec_b32 s19, s1
	s_cbranch_execz .LBB2_351
; %bb.336:                              ;   in Loop: Header=BB2_335 Depth=2
	v_add_nc_u64_e32 v[2:3], 1, v[14:15]
	v_add_nc_u64_e32 v[16:17], 8, v[54:55]
	s_mov_b32 s20, exec_lo
	s_delay_alu instid0(VALU_DEP_1)
	v_cmpx_lt_u64_e64 v[16:17], v[2:3]
	s_cbranch_execz .LBB2_348
; %bb.337:                              ;   in Loop: Header=BB2_335 Depth=2
	s_mov_b32 s21, 0
	s_mov_b32 s25, 0
	v_cmp_eq_u32_e32 vcc_lo, 0, v60
                                        ; implicit-def: $sgpr22
                                        ; implicit-def: $sgpr23
                                        ; implicit-def: $sgpr24
	s_branch .LBB2_340
.LBB2_338:                              ;   in Loop: Header=BB2_340 Depth=3
	s_or_b32 exec_lo, exec_lo, s40
	s_delay_alu instid0(SALU_CYCLE_1)
	s_and_not1_b32 s8, s24, exec_lo
	s_and_b32 s24, s28, exec_lo
	s_and_not1_b32 s23, s23, exec_lo
	s_and_b32 s27, s27, exec_lo
	s_or_b32 s24, s8, s24
	s_or_b32 s23, s23, s27
.LBB2_339:                              ;   in Loop: Header=BB2_340 Depth=3
	s_or_b32 exec_lo, exec_lo, s26
	s_delay_alu instid0(SALU_CYCLE_1) | instskip(NEXT) | instid1(SALU_CYCLE_1)
	s_and_b32 s8, exec_lo, s23
	s_or_b32 s21, s8, s21
	s_and_not1_b32 s8, s22, exec_lo
	s_and_b32 s22, s24, exec_lo
	s_delay_alu instid0(SALU_CYCLE_1)
	s_or_b32 s22, s8, s22
	s_and_not1_b32 exec_lo, exec_lo, s21
	s_cbranch_execz .LBB2_345
.LBB2_340:                              ;   Parent Loop BB2_46 Depth=1
                                        ;     Parent Loop BB2_335 Depth=2
                                        ; =>    This Inner Loop Header: Depth=3
	s_sleep 1
	s_wait_loadcnt_dscnt 0x0
	flat_load_b64 v[54:55], v[50:51] scope:SCOPE_DEV
	v_mov_b32_e32 v60, 1
	s_or_b32 s24, s24, exec_lo
	s_or_b32 s23, s23, exec_lo
                                        ; implicit-def: $vgpr5
	s_wait_xcnt 0x0
	s_and_saveexec_b32 s26, vcc_lo
	s_cbranch_execz .LBB2_339
; %bb.341:                              ;   in Loop: Header=BB2_340 Depth=3
	s_add_co_i32 s25, s25, 1
	s_mov_b32 s27, -1
	s_cmp_lg_u32 s25, 0x2710
	s_mov_b32 s28, -1
	s_cselect_b32 s29, -1, 0
	s_cmp_eq_u32 s25, 0x2710
                                        ; implicit-def: $vgpr5
	s_cbranch_scc1 .LBB2_343
; %bb.342:                              ;   in Loop: Header=BB2_340 Depth=3
	v_mov_b32_e32 v60, 1
	s_and_saveexec_b32 s40, s29
	s_cbranch_execz .LBB2_338
	s_branch .LBB2_344
.LBB2_343:                              ;   in Loop: Header=BB2_340 Depth=3
	s_trap 2
	ds_load_b64 v[16:17], v0
	s_and_not1_b32 s25, s29, exec_lo
	s_mov_b32 s28, 0
	s_wait_storecnt 0x0
	s_wait_loadcnt_dscnt 0x0
	flat_load_b32 v5, v[16:17] scope:SCOPE_SYS
	s_wait_loadcnt_dscnt 0x0
	global_inv scope:SCOPE_SYS
	v_cmp_eq_u32_e64 s8, 0, v5
	s_and_b32 s8, s8, exec_lo
	s_delay_alu instid0(SALU_CYCLE_1)
	s_or_b32 s29, s25, s8
	s_mov_b32 s25, 0
	v_mov_b32_e32 v60, 1
	s_and_saveexec_b32 s40, s29
	s_cbranch_execz .LBB2_338
.LBB2_344:                              ;   in Loop: Header=BB2_340 Depth=3
	s_wait_loadcnt_dscnt 0x0
	v_add_nc_u64_e32 v[16:17], 8, v[54:55]
	v_mov_b32_e32 v60, 0
	s_or_b32 s28, s28, exec_lo
	s_delay_alu instid0(VALU_DEP_2)
	v_cmp_ge_u64_e64 s8, v[16:17], v[2:3]
	s_or_not1_b32 s27, s8, exec_lo
	s_branch .LBB2_338
.LBB2_345:                              ;   in Loop: Header=BB2_335 Depth=2
	s_or_b32 exec_lo, exec_lo, s21
	s_xor_b32 s8, s22, -1
	s_delay_alu instid0(SALU_CYCLE_1) | instskip(NEXT) | instid1(SALU_CYCLE_1)
	s_and_saveexec_b32 s21, s8
	s_xor_b32 s8, exec_lo, s21
	s_cbranch_execz .LBB2_347
; %bb.346:                              ;   in Loop: Header=BB2_335 Depth=2
	v_mov_b32_e32 v60, 1
	s_wait_storecnt 0x0
	s_wait_loadcnt_dscnt 0x0
	ds_store_b32 v0, v5
	s_trap 2
.LBB2_347:                              ;   in Loop: Header=BB2_335 Depth=2
	s_or_b32 exec_lo, exec_lo, s8
.LBB2_348:                              ;   in Loop: Header=BB2_335 Depth=2
	s_delay_alu instid0(SALU_CYCLE_1)
	s_or_b32 exec_lo, exec_lo, s20
	s_and_saveexec_b32 s8, s2
	s_cbranch_execz .LBB2_350
; %bb.349:                              ;   in Loop: Header=BB2_335 Depth=2
	v_and_b32_e32 v64, 0x7ffffff8, v14
	s_delay_alu instid0(VALU_DEP_1) | instskip(SKIP_1) | instid1(VALU_DEP_1)
	v_cmp_eq_u64_e32 vcc_lo, 0x7ffffff8, v[64:65]
	v_cndmask_b32_e64 v16, v30, s11, vcc_lo
	v_dual_ashrrev_i32 v17, 31, v16 :: v_dual_bitop2_b32 v5, 7, v14 bitop3:0x40
	s_delay_alu instid0(VALU_DEP_1)
	v_mad_nc_u64_u32 v[14:15], v5, 24, v[12:13]
	flat_store_b64 v[14:15], v[16:17] offset:8 scope:SCOPE_SYS
	s_wait_storecnt 0x0
.LBB2_350:                              ;   in Loop: Header=BB2_335 Depth=2
	s_wait_xcnt 0x0
	s_or_b32 exec_lo, exec_lo, s8
	v_mov_b64_e32 v[14:15], v[2:3]
.LBB2_351:                              ;   in Loop: Header=BB2_335 Depth=2
	s_or_b32 exec_lo, exec_lo, s19
	s_and_saveexec_b32 s8, s3
	s_cbranch_execz .LBB2_370
; %bb.352:                              ;   in Loop: Header=BB2_335 Depth=2
	s_and_saveexec_b32 s19, s4
	s_delay_alu instid0(SALU_CYCLE_1)
	s_xor_b32 s19, exec_lo, s19
	s_cbranch_execz .LBB2_367
; %bb.353:                              ;   in Loop: Header=BB2_335 Depth=2
	s_and_saveexec_b32 s20, s5
	s_cbranch_execz .LBB2_366
; %bb.354:                              ;   in Loop: Header=BB2_335 Depth=2
	s_mov_b32 s22, exec_lo
	s_mov_b32 s21, exec_lo
	v_mbcnt_lo_u32_b32 v2, s22, 0
	global_wb scope:SCOPE_DEV
	s_wait_storecnt 0x0
	s_wait_loadcnt_dscnt 0x0
	global_inv scope:SCOPE_DEV
	v_cmpx_eq_u32_e32 0, v2
	s_cbranch_execz .LBB2_356
; %bb.355:                              ;   in Loop: Header=BB2_335 Depth=2
	s_bcnt1_i32_b32 s22, s22
	s_delay_alu instid0(SALU_CYCLE_1)
	v_mov_b32_e32 v64, s22
	s_wait_loadcnt 0x0
	ds_add_u64 v0, v[64:65]
	s_trap 2
.LBB2_356:                              ;   in Loop: Header=BB2_335 Depth=2
	s_or_b32 exec_lo, exec_lo, s21
	s_trap 2
	ds_load_b64 v[2:3], v0
	s_wait_dscnt 0x0
	v_add_nc_u64_e32 v[52:53], v[52:53], v[82:83]
	s_mov_b32 s21, exec_lo
	s_delay_alu instid0(VALU_DEP_1)
	v_cmpx_lt_u64_e64 v[2:3], v[52:53]
	s_cbranch_execz .LBB2_365
; %bb.357:                              ;   in Loop: Header=BB2_335 Depth=2
	s_mov_b32 s22, 0
	s_mov_b32 s25, 0
                                        ; implicit-def: $sgpr23
                                        ; implicit-def: $sgpr24
	s_branch .LBB2_359
.LBB2_358:                              ;   in Loop: Header=BB2_359 Depth=3
	s_or_b32 exec_lo, exec_lo, s27
	s_delay_alu instid0(SALU_CYCLE_1) | instskip(NEXT) | instid1(SALU_CYCLE_1)
	s_and_b32 s26, exec_lo, s28
	s_or_b32 s22, s26, s22
	s_and_not1_b32 s23, s23, exec_lo
	s_and_b32 s26, s24, exec_lo
	s_delay_alu instid0(SALU_CYCLE_1)
	s_or_b32 s23, s23, s26
	s_and_not1_b32 exec_lo, exec_lo, s22
	s_cbranch_execz .LBB2_363
.LBB2_359:                              ;   Parent Loop BB2_46 Depth=1
                                        ;     Parent Loop BB2_335 Depth=2
                                        ; =>    This Inner Loop Header: Depth=3
	s_add_co_i32 s25, s25, 1
	s_delay_alu instid0(SALU_CYCLE_1) | instskip(SKIP_1) | instid1(SALU_CYCLE_1)
	s_cmp_lg_u32 s25, 0x2710
	s_cselect_b32 s26, -1, 0
	s_and_b32 vcc_lo, exec_lo, s26
	s_cbranch_vccz .LBB2_361
; %bb.360:                              ;   in Loop: Header=BB2_359 Depth=3
	s_mov_b32 s28, -1
	s_or_b32 s24, s24, exec_lo
	s_and_saveexec_b32 s27, s26
	s_cbranch_execz .LBB2_358
	s_branch .LBB2_362
.LBB2_361:                              ;   in Loop: Header=BB2_359 Depth=3
	s_trap 2
	ds_load_b64 v[2:3], v0
	s_and_not1_b32 s26, s26, exec_lo
	s_mov_b32 s25, 0
	s_wait_loadcnt_dscnt 0x0
	flat_load_b32 v2, v[2:3] scope:SCOPE_SYS
	s_wait_loadcnt_dscnt 0x0
	global_inv scope:SCOPE_SYS
	v_cmp_eq_u32_e32 vcc_lo, 0, v2
	s_and_b32 s27, vcc_lo, exec_lo
	s_delay_alu instid0(SALU_CYCLE_1)
	s_or_b32 s26, s26, s27
	s_mov_b32 s28, -1
	s_or_b32 s24, s24, exec_lo
	s_and_saveexec_b32 s27, s26
	s_cbranch_execz .LBB2_358
.LBB2_362:                              ;   in Loop: Header=BB2_359 Depth=3
	s_sleep 1
	s_trap 2
	ds_load_b64 v[2:3], v0
	s_wait_dscnt 0x0
	s_and_not1_b32 s24, s24, exec_lo
	v_cmp_ge_u64_e32 vcc_lo, v[2:3], v[52:53]
	s_or_not1_b32 s28, vcc_lo, exec_lo
	s_branch .LBB2_358
.LBB2_363:                              ;   in Loop: Header=BB2_335 Depth=2
	s_or_b32 exec_lo, exec_lo, s22
	s_and_saveexec_b32 s22, s23
	s_delay_alu instid0(SALU_CYCLE_1)
	s_xor_b32 s22, exec_lo, s22
	s_cbranch_execz .LBB2_365
; %bb.364:                              ;   in Loop: Header=BB2_335 Depth=2
	ds_store_b32 v0, v1
	s_trap 2
.LBB2_365:                              ;   in Loop: Header=BB2_335 Depth=2
	s_or_b32 exec_lo, exec_lo, s21
	;;#ASMSTART
	s_wakeup
	;;#ASMEND
.LBB2_366:                              ;   in Loop: Header=BB2_335 Depth=2
	s_or_b32 exec_lo, exec_lo, s20
.LBB2_367:                              ;   in Loop: Header=BB2_335 Depth=2
	s_and_not1_saveexec_b32 s19, s19
	s_cbranch_execz .LBB2_369
; %bb.368:                              ;   in Loop: Header=BB2_335 Depth=2
	global_wb scope:SCOPE_DEV
	s_wait_storecnt 0x0
	s_wait_loadcnt_dscnt 0x0
	global_inv scope:SCOPE_DEV
	s_barrier_signal -1
	s_barrier_wait -1
.LBB2_369:                              ;   in Loop: Header=BB2_335 Depth=2
	s_or_b32 exec_lo, exec_lo, s19
.LBB2_370:                              ;   in Loop: Header=BB2_335 Depth=2
	s_delay_alu instid0(SALU_CYCLE_1)
	s_or_b32 exec_lo, exec_lo, s8
	v_dual_mov_b32 v64, v0 :: v_dual_add_nc_u32 v3, 1, v114
	s_and_saveexec_b32 s19, s7
	s_cbranch_execnz .LBB2_377
; %bb.371:                              ;   in Loop: Header=BB2_335 Depth=2
	s_or_b32 exec_lo, exec_lo, s19
	s_and_saveexec_b32 s8, s3
	s_cbranch_execnz .LBB2_956
.LBB2_372:                              ;   in Loop: Header=BB2_335 Depth=2
	s_or_b32 exec_lo, exec_lo, s8
	s_and_saveexec_b32 s8, s6
	s_cbranch_execz .LBB2_374
.LBB2_373:                              ;   in Loop: Header=BB2_335 Depth=2
	v_add_nc_u64_e32 v[38:39], 1, v[38:39]
	global_wb scope:SCOPE_SYS
	s_wait_storecnt 0x0
	s_wait_loadcnt_dscnt 0x0
	flat_store_b64 v[48:49], v[38:39] scope:SCOPE_SYS
.LBB2_374:                              ;   in Loop: Header=BB2_335 Depth=2
	s_wait_xcnt 0x0
	s_or_b32 exec_lo, exec_lo, s8
	s_wait_loadcnt_dscnt 0x0
	v_and_b32_e32 v4, 0x7ffffff8, v114
	v_mov_b32_e32 v5, v65
	v_cmp_gt_i32_e64 s8, s15, v64
	s_delay_alu instid0(VALU_DEP_2) | instskip(SKIP_1) | instid1(SALU_CYCLE_1)
	v_cmp_eq_u64_e32 vcc_lo, 0x7ffffff8, v[4:5]
	s_and_b32 s19, vcc_lo, s8
	s_and_saveexec_b32 s8, s19
	s_cbranch_execz .LBB2_334
; %bb.375:                              ;   in Loop: Header=BB2_335 Depth=2
	v_dual_ashrrev_i32 v17, 31, v64 :: v_dual_bitop2_b32 v2, 7, v62 bitop3:0x40
	v_mov_b32_e32 v16, v64
	s_mov_b32 s19, 0
	s_delay_alu instid0(VALU_DEP_2) | instskip(NEXT) | instid1(VALU_DEP_1)
	v_mul_lo_u32 v4, s15, v2
	v_dual_mov_b32 v2, v65 :: v_dual_ashrrev_i32 v5, 31, v4
	s_delay_alu instid0(VALU_DEP_1) | instskip(NEXT) | instid1(VALU_DEP_1)
	v_lshlrev_b64_e32 v[4:5], 4, v[4:5]
	v_lshl_add_u64 v[4:5], v[16:17], 4, v[4:5]
	s_delay_alu instid0(VALU_DEP_1)
	v_add_nc_u64_e32 v[16:17], v[36:37], v[4:5]
.LBB2_376:                              ;   Parent Loop BB2_46 Depth=1
                                        ;     Parent Loop BB2_335 Depth=2
                                        ; =>    This Inner Loop Header: Depth=3
	s_delay_alu instid0(VALU_DEP_4) | instskip(SKIP_1) | instid1(VALU_DEP_2)
	v_dual_mov_b32 v4, v2 :: v_dual_add_nc_u32 v64, v64, v20
	v_mov_b32_e32 v5, v3
	v_cmp_le_i32_e32 vcc_lo, s15, v64
	global_store_b128 v[16:17], v[2:5], off
	s_wait_xcnt 0x0
	v_add_nc_u64_e32 v[16:17], v[16:17], v[102:103]
	s_or_b32 s19, vcc_lo, s19
	s_delay_alu instid0(SALU_CYCLE_1)
	s_and_not1_b32 exec_lo, exec_lo, s19
	s_cbranch_execnz .LBB2_376
	s_branch .LBB2_334
.LBB2_377:                              ;   in Loop: Header=BB2_335 Depth=2
	v_and_b32_e32 v2, 7, v34
	s_wait_loadcnt_dscnt 0x0
	v_mad_nc_u64_u32 v[118:119], v68, v4, v[116:117]
	v_dual_mov_b32 v64, v0 :: v_dual_add_nc_u32 v63, 1, v34
	s_mov_b32 s20, 0
	v_mul_lo_u32 v16, v2, s15
	v_dual_mov_b32 v72, v61 :: v_dual_bitop2_b32 v5, 7, v114 bitop3:0x40
	s_delay_alu instid0(VALU_DEP_4) | instskip(SKIP_1) | instid1(VALU_DEP_4)
	v_mad_u32 v2, v69, v4, v119
	v_ashrrev_i32_e32 v4, 31, v4
	v_ashrrev_i32_e32 v17, 31, v16
	s_delay_alu instid0(VALU_DEP_4) | instskip(NEXT) | instid1(VALU_DEP_2)
	v_mul_lo_u32 v18, v5, s15
	v_lshl_add_u64 v[40:41], v[16:17], 4, v[32:33]
	s_delay_alu instid0(VALU_DEP_4) | instskip(NEXT) | instid1(VALU_DEP_3)
	v_mad_u32 v119, v68, v4, v2
	v_ashrrev_i32_e32 v19, 31, v18
	s_delay_alu instid0(VALU_DEP_1)
	v_lshl_add_u64 v[42:43], v[18:19], 4, v[36:37]
	s_branch .LBB2_380
.LBB2_378:                              ;   in Loop: Header=BB2_380 Depth=3
	s_or_b32 exec_lo, exec_lo, s21
.LBB2_379:                              ;   in Loop: Header=BB2_380 Depth=3
	s_delay_alu instid0(SALU_CYCLE_1) | instskip(SKIP_3) | instid1(VALU_DEP_3)
	s_or_b32 exec_lo, exec_lo, s8
	v_dual_lshlrev_b32 v2, 8, v75 :: v_dual_lshlrev_b32 v4, 16, v46
	v_dual_lshlrev_b32 v5, 8, v74 :: v_dual_lshlrev_b32 v17, 16, v44
	v_dual_lshlrev_b32 v18, 24, v47 :: v_dual_sub_nc_u32 v72, v72, v86
	v_or3_b32 v2, v2, v73, v4
	v_lshlrev_b32_e32 v4, 24, v16
	s_delay_alu instid0(VALU_DEP_4)
	v_or3_b32 v5, v5, v19, v17
	v_add_nc_u64_e32 v[118:119], v[118:119], v[86:87]
	v_lshl_add_u64 v[16:17], v[64:65], 4, v[42:43]
	v_or3_b32 v2, v2, v18, 0
	v_add_nc_u32_e32 v64, v64, v20
	v_or3_b32 v4, v5, v4, 0
	v_mov_b32_e32 v5, v3
	v_cmp_gt_i32_e32 vcc_lo, 1, v72
	global_store_b128 v[16:17], v[2:5], off
	s_or_b32 s20, vcc_lo, s20
	s_wait_xcnt 0x0
	s_and_not1_b32 exec_lo, exec_lo, s20
	s_cbranch_execz .LBB2_955
.LBB2_380:                              ;   Parent Loop BB2_46 Depth=1
                                        ;     Parent Loop BB2_335 Depth=2
                                        ; =>    This Loop Header: Depth=3
                                        ;         Child Loop BB2_388 Depth 4
	s_delay_alu instid0(VALU_DEP_3)
	v_dual_mov_b32 v5, v119 :: v_dual_bitop2_b32 v4, -4, v118 bitop3:0x40
	v_min_u32_e32 v16, 8, v72
	v_dual_mov_b32 v74, 0 :: v_dual_bitop2_b32 v17, 3, v118 bitop3:0x40
	v_mov_b32_e32 v76, 0
	global_load_b32 v2, v[4:5], off th:TH_LOAD_NT
	s_mov_b32 s8, exec_lo
	v_add_nc_u32_e32 v16, v17, v16
	s_wait_xcnt 0x0
	s_delay_alu instid0(VALU_DEP_1)
	v_cmpx_lt_u32_e32 4, v16
	s_cbranch_execz .LBB2_382
; %bb.381:                              ;   in Loop: Header=BB2_380 Depth=3
	global_load_b32 v76, v[4:5], off offset:4 th:TH_LOAD_NT
.LBB2_382:                              ;   in Loop: Header=BB2_380 Depth=3
	s_wait_xcnt 0x0
	s_or_b32 exec_lo, exec_lo, s8
	v_mov_b32_e32 v17, v65
	s_mov_b32 s8, exec_lo
	s_delay_alu instid0(VALU_DEP_1)
	v_cmpx_lt_u64_e32 8, v[16:17]
	s_cbranch_execz .LBB2_384
; %bb.383:                              ;   in Loop: Header=BB2_380 Depth=3
	global_load_b32 v74, v[4:5], off offset:8 th:TH_LOAD_NT
.LBB2_384:                              ;   in Loop: Header=BB2_380 Depth=3
	s_wait_xcnt 0x0
	s_or_b32 exec_lo, exec_lo, s8
	v_lshl_add_u64 v[4:5], v[64:65], 4, v[40:41]
	v_cmp_eq_u32_e32 vcc_lo, 0, v60
	v_mov_b32_e32 v60, 1
	global_load_b128 v[16:19], v[4:5], off th:TH_LOAD_NT
	s_wait_xcnt 0x0
	s_and_saveexec_b32 s21, vcc_lo
	s_cbranch_execz .LBB2_396
; %bb.385:                              ;   in Loop: Header=BB2_380 Depth=3
	s_wait_loadcnt 0x0
	v_cmp_ne_u32_e32 vcc_lo, v63, v17
	v_cmp_ne_u32_e64 s8, v63, v19
	v_mov_b32_e32 v60, 0
	s_or_b32 s8, vcc_lo, s8
	s_delay_alu instid0(SALU_CYCLE_1)
	s_and_saveexec_b32 s22, s8
	s_cbranch_execz .LBB2_395
; %bb.386:                              ;   in Loop: Header=BB2_380 Depth=3
	s_mov_b32 s26, 1
	s_mov_b32 s24, 0
                                        ; implicit-def: $sgpr23
                                        ; implicit-def: $sgpr25
	s_branch .LBB2_388
.LBB2_387:                              ;   in Loop: Header=BB2_388 Depth=4
	s_or_b32 exec_lo, exec_lo, s28
	s_delay_alu instid0(SALU_CYCLE_1) | instskip(NEXT) | instid1(SALU_CYCLE_1)
	s_and_b32 s8, exec_lo, s8
	s_or_b32 s24, s8, s24
	s_and_not1_b32 s8, s23, exec_lo
	s_and_b32 s23, s25, exec_lo
	s_delay_alu instid0(SALU_CYCLE_1)
	s_or_b32 s23, s8, s23
	s_and_not1_b32 exec_lo, exec_lo, s24
	s_cbranch_execz .LBB2_392
.LBB2_388:                              ;   Parent Loop BB2_46 Depth=1
                                        ;     Parent Loop BB2_335 Depth=2
                                        ;       Parent Loop BB2_380 Depth=3
                                        ; =>      This Inner Loop Header: Depth=4
	s_wait_loadcnt 0x0
	global_load_b128 v[16:19], v[4:5], off th:TH_LOAD_NT
	s_add_co_i32 s26, s26, 1
	s_mov_b32 s8, -1
	s_cmp_lg_u32 s26, 0x2710
	s_mov_b32 s27, -1
                                        ; implicit-def: $vgpr44
	s_cbranch_scc0 .LBB2_390
; %bb.389:                              ;   in Loop: Header=BB2_388 Depth=4
	s_or_b32 s25, s25, exec_lo
	s_wait_xcnt 0x0
	s_and_saveexec_b32 s28, s27
	s_cbranch_execz .LBB2_387
	s_branch .LBB2_391
.LBB2_390:                              ;   in Loop: Header=BB2_388 Depth=4
	s_trap 2
	ds_load_b64 v[44:45], v0
	s_mov_b32 s26, 0
	s_wait_storecnt 0x0
	s_wait_loadcnt_dscnt 0x0
	flat_load_b32 v44, v[44:45] scope:SCOPE_SYS
	s_wait_loadcnt_dscnt 0x0
	global_inv scope:SCOPE_SYS
	v_cmp_eq_u32_e32 vcc_lo, 0, v44
	s_or_not1_b32 s27, vcc_lo, exec_lo
	s_or_b32 s25, s25, exec_lo
	s_wait_xcnt 0x0
	s_and_saveexec_b32 s28, s27
	s_cbranch_execz .LBB2_387
.LBB2_391:                              ;   in Loop: Header=BB2_388 Depth=4
	s_wait_loadcnt 0x0
	v_cmp_eq_u32_e32 vcc_lo, v63, v17
	v_cmp_eq_u32_e64 s8, v63, v19
	s_and_not1_b32 s25, s25, exec_lo
	s_and_b32 s8, vcc_lo, s8
	s_delay_alu instid0(SALU_CYCLE_1)
	s_or_not1_b32 s8, s8, exec_lo
	s_branch .LBB2_387
.LBB2_392:                              ;   in Loop: Header=BB2_380 Depth=3
	s_or_b32 exec_lo, exec_lo, s24
	v_mov_b32_e32 v60, 0
	s_and_saveexec_b32 s8, s23
	s_delay_alu instid0(SALU_CYCLE_1)
	s_xor_b32 s8, exec_lo, s8
	s_cbranch_execz .LBB2_394
; %bb.393:                              ;   in Loop: Header=BB2_380 Depth=3
	v_mov_b32_e32 v60, 1
	s_wait_loadcnt 0x0
	s_wait_storecnt 0x0
	ds_store_b32 v0, v44
	s_trap 2
.LBB2_394:                              ;   in Loop: Header=BB2_380 Depth=3
	s_or_b32 exec_lo, exec_lo, s8
.LBB2_395:                              ;   in Loop: Header=BB2_380 Depth=3
	s_delay_alu instid0(SALU_CYCLE_1)
	s_or_b32 exec_lo, exec_lo, s22
.LBB2_396:                              ;   in Loop: Header=BB2_380 Depth=3
	s_delay_alu instid0(SALU_CYCLE_1) | instskip(SKIP_2) | instid1(VALU_DEP_1)
	s_or_b32 exec_lo, exec_lo, s21
	v_dual_lshlrev_b32 v77, 3, v118 :: v_dual_mov_b32 v5, v65
	s_wait_loadcnt 0x1
	v_alignbit_b32 v4, v76, v2, v77
	s_delay_alu instid0(VALU_DEP_1) | instskip(NEXT) | instid1(VALU_DEP_1)
	v_and_b32_e32 v2, 0xff, v4
	v_cmp_ne_u16_e32 vcc_lo, 0, v2
	v_mov_b32_e32 v2, 0
	s_and_saveexec_b32 s8, vcc_lo
	s_cbranch_execz .LBB2_406
; %bb.397:                              ;   in Loop: Header=BB2_380 Depth=3
	v_bfe_i32 v45, v4, 0, 8
	v_bfrev_b32_e32 v2, 1
	s_mov_b32 s21, exec_lo
	s_delay_alu instid0(VALU_DEP_2)
	v_cmpx_ne_u16_e32 0xff80, v45
	s_cbranch_execz .LBB2_405
; %bb.398:                              ;   in Loop: Header=BB2_380 Depth=3
	v_and_b32_e32 v2, 0x7c, v4
	v_and_b32_e32 v44, 3, v4
	s_delay_alu instid0(VALU_DEP_2) | instskip(SKIP_1) | instid1(SALU_CYCLE_1)
	v_cmp_ne_u32_e32 vcc_lo, 0x7c, v2
                                        ; implicit-def: $vgpr2
	s_and_saveexec_b32 s22, vcc_lo
	s_xor_b32 s22, exec_lo, s22
	s_cbranch_execz .LBB2_402
; %bb.399:                              ;   in Loop: Header=BB2_380 Depth=3
	v_bfe_u32 v2, v4, 2, 5
	s_mov_b32 s23, exec_lo
	s_delay_alu instid0(VALU_DEP_1)
	v_cmpx_eq_u32_e32 0, v2
; %bb.400:                              ;   in Loop: Header=BB2_380 Depth=3
	v_clz_i32_u32_e32 v2, v44
	s_delay_alu instid0(VALU_DEP_1) | instskip(NEXT) | instid1(VALU_DEP_1)
	v_min_u32_e32 v2, 32, v2
	v_subrev_nc_u32_e32 v44, 29, v2
	s_delay_alu instid0(VALU_DEP_1) | instskip(NEXT) | instid1(VALU_DEP_1)
	v_lshlrev_b64_e32 v[44:45], v44, v[4:5]
	v_dual_sub_nc_u32 v2, 30, v2 :: v_dual_bitop2_b32 v44, 3, v44 bitop3:0x40
; %bb.401:                              ;   in Loop: Header=BB2_380 Depth=3
	s_or_b32 exec_lo, exec_lo, s23
	v_lshlrev_b32_e32 v5, 24, v4
                                        ; implicit-def: $vgpr45
	s_delay_alu instid0(VALU_DEP_1) | instskip(NEXT) | instid1(VALU_DEP_1)
	v_and_b32_e32 v5, 0x80000000, v5
	v_lshl_add_u32 v2, v2, 23, v5
	s_delay_alu instid0(VALU_DEP_1) | instskip(NEXT) | instid1(VALU_DEP_1)
	v_lshl_or_b32 v2, v44, 21, v2
                                        ; implicit-def: $vgpr44
	v_add_nc_u32_e32 v2, 0x38000000, v2
.LBB2_402:                              ;   in Loop: Header=BB2_380 Depth=3
	s_and_not1_saveexec_b32 s22, s22
; %bb.403:                              ;   in Loop: Header=BB2_380 Depth=3
	v_cmp_lt_i16_e32 vcc_lo, -1, v45
	v_cndmask_b32_e32 v2, 0xff800000, v21, vcc_lo
	v_cmp_eq_u32_e32 vcc_lo, 0, v44
	s_delay_alu instid0(VALU_DEP_2)
	v_cndmask_b32_e32 v2, 0x7f800001, v2, vcc_lo
; %bb.404:                              ;   in Loop: Header=BB2_380 Depth=3
	s_or_b32 exec_lo, exec_lo, s22
.LBB2_405:                              ;   in Loop: Header=BB2_380 Depth=3
	s_delay_alu instid0(SALU_CYCLE_1)
	s_or_b32 exec_lo, exec_lo, s21
.LBB2_406:                              ;   in Loop: Header=BB2_380 Depth=3
	s_delay_alu instid0(SALU_CYCLE_1) | instskip(NEXT) | instid1(VALU_DEP_1)
	s_or_b32 exec_lo, exec_lo, s8
	v_dual_mul_f32 v5, v56, v2 :: v_dual_mov_b32 v47, v65
	v_mov_b32_e32 v45, v65
                                        ; implicit-def: $vgpr73
	s_mov_b32 s8, exec_lo
	s_delay_alu instid0(VALU_DEP_2) | instskip(SKIP_2) | instid1(VALU_DEP_3)
	v_and_b32_e32 v46, 0x7f800000, v5
	v_and_b32_e32 v44, 0x7fffff, v5
	v_lshrrev_b32_e32 v2, 24, v5
	v_cmpx_ne_u64_e32 0x7f800000, v[46:47]
	s_xor_b32 s21, exec_lo, s8
	s_cbranch_execz .LBB2_420
; %bb.407:                              ;   in Loop: Header=BB2_380 Depth=3
	v_and_b32_e32 v46, 0x7fffffff, v5
	v_mov_b32_e32 v47, v65
	v_and_b32_e32 v2, 0x80, v2
                                        ; implicit-def: $vgpr73
	s_mov_b32 s8, exec_lo
	s_delay_alu instid0(VALU_DEP_2)
	v_cmpx_gt_u64_e32 0x47600001, v[46:47]
	s_xor_b32 s22, exec_lo, s8
	s_cbranch_execz .LBB2_417
; %bb.408:                              ;   in Loop: Header=BB2_380 Depth=3
	v_mov_b32_e32 v73, 0
	s_mov_b32 s23, exec_lo
	v_cmpx_ne_u32_e32 0, v5
	s_cbranch_execz .LBB2_416
; %bb.409:                              ;   in Loop: Header=BB2_380 Depth=3
	v_bfe_u32 v5, v5, 23, 8
	v_or_b32_e32 v75, 0x800000, v44
	s_delay_alu instid0(VALU_DEP_2) | instskip(SKIP_1) | instid1(VALU_DEP_2)
	v_sub_nc_u32_e32 v46, 0x71, v5
	v_cmp_gt_u32_e32 vcc_lo, 0x72, v5
	v_cndmask_b32_e32 v46, 0, v46, vcc_lo
	v_cmp_eq_u32_e32 vcc_lo, 0, v5
	s_delay_alu instid0(VALU_DEP_2) | instskip(NEXT) | instid1(VALU_DEP_1)
	v_cndmask_b32_e64 v73, v46, 0x70, vcc_lo
	v_dual_cndmask_b32 v44, v75, v44, vcc_lo :: v_dual_add_nc_u32 v46, 21, v73
	v_add_nc_u32_e32 v78, 20, v73
	s_delay_alu instid0(VALU_DEP_2) | instskip(NEXT) | instid1(VALU_DEP_2)
	v_lshlrev_b64_e64 v[46:47], v46, -1
	v_lshlrev_b64_e64 v[78:79], v78, 1
	s_delay_alu instid0(VALU_DEP_2) | instskip(SKIP_1) | instid1(VALU_DEP_4)
	v_bfi_b32 v46, v46, 0, v44
	v_lshrrev_b64 v[44:45], v73, v[44:45]
	v_bfi_b32 v47, v47, 0, 0
	s_delay_alu instid0(VALU_DEP_1) | instskip(NEXT) | instid1(VALU_DEP_3)
	v_cmp_eq_u64_e64 s8, v[46:47], v[78:79]
	v_mov_b64_e32 v[46:47], v[44:45]
	s_and_saveexec_b32 s24, s8
; %bb.410:                              ;   in Loop: Header=BB2_380 Depth=3
	v_bfe_u32 v46, v44, 21, 1
	v_mov_b32_e32 v47, v65
	s_delay_alu instid0(VALU_DEP_1) | instskip(NEXT) | instid1(VALU_DEP_1)
	v_add_nc_u64_e32 v[46:47], v[44:45], v[46:47]
	v_add_nc_u64_e32 v[46:47], -1, v[46:47]
; %bb.411:                              ;   in Loop: Header=BB2_380 Depth=3
	s_or_b32 exec_lo, exec_lo, s24
	v_add_nc_u32_e32 v5, 0xffffff81, v5
	v_lshrrev_b32_e32 v45, 23, v44
	s_mov_b32 s8, exec_lo
	s_delay_alu instid0(VALU_DEP_2) | instskip(NEXT) | instid1(VALU_DEP_1)
	v_cndmask_b32_e64 v5, v5, 0xffffff82, vcc_lo
	v_add3_u32 v47, v73, v5, v45
	v_and_b32_e32 v5, 0x1fffff, v46
	s_delay_alu instid0(VALU_DEP_2) | instskip(NEXT) | instid1(VALU_DEP_2)
	v_dual_mov_b32 v45, v65 :: v_dual_add_nc_u32 v46, 14, v47
	v_add_nc_u32_e32 v44, v5, v44
                                        ; implicit-def: $vgpr5
	s_delay_alu instid0(VALU_DEP_2)
	v_cmpx_ne_u32_e32 0, v46
	s_xor_b32 s8, exec_lo, s8
; %bb.412:                              ;   in Loop: Header=BB2_380 Depth=3
	s_delay_alu instid0(VALU_DEP_2) | instskip(SKIP_1) | instid1(VALU_DEP_1)
	v_cmp_lt_u64_e32 vcc_lo, 0xffffff, v[44:45]
	v_add_nc_u32_e32 v5, 15, v47
	v_cndmask_b32_e32 v5, v46, v5, vcc_lo
	v_cndmask_b32_e64 v46, 0, 1, vcc_lo
	s_delay_alu instid0(VALU_DEP_1)
	v_lshrrev_b64 v[44:45], v46, v[44:45]
; %bb.413:                              ;   in Loop: Header=BB2_380 Depth=3
	s_and_not1_saveexec_b32 s8, s8
; %bb.414:                              ;   in Loop: Header=BB2_380 Depth=3
	s_delay_alu instid0(VALU_DEP_1)
	v_bfe_u32 v5, v44, 23, 1
; %bb.415:                              ;   in Loop: Header=BB2_380 Depth=3
	s_or_b32 exec_lo, exec_lo, s8
	s_delay_alu instid0(VALU_DEP_2) | instskip(NEXT) | instid1(VALU_DEP_2)
	v_lshrrev_b64 v[44:45], 21, v[44:45]
	v_cmp_gt_i32_e32 vcc_lo, 32, v5
	v_min_i32_e32 v46, 31, v5
	v_cmp_eq_u32_e64 s8, 0, v5
	s_delay_alu instid0(VALU_DEP_2) | instskip(SKIP_1) | instid1(VALU_DEP_2)
	v_dual_cndmask_b32 v44, 3, v44, vcc_lo :: v_dual_lshlrev_b32 v46, 2, v46
	v_cndmask_b32_e32 v45, 0, v45, vcc_lo
	v_and_b32_e32 v46, 0xfc, v46
	s_delay_alu instid0(VALU_DEP_2) | instskip(NEXT) | instid1(VALU_DEP_2)
	v_cmp_eq_u64_e32 vcc_lo, 0, v[44:45]
	v_and_or_b32 v5, v44, 3, v46
	s_and_b32 s8, s8, vcc_lo
	s_delay_alu instid0(VALU_DEP_1) | instid1(SALU_CYCLE_1)
	v_cndmask_b32_e64 v5, v5, 0, s8
	s_delay_alu instid0(VALU_DEP_1)
	v_or_b32_e32 v73, v5, v2
.LBB2_416:                              ;   in Loop: Header=BB2_380 Depth=3
	s_or_b32 exec_lo, exec_lo, s23
                                        ; implicit-def: $vgpr2
.LBB2_417:                              ;   in Loop: Header=BB2_380 Depth=3
	s_and_not1_saveexec_b32 s8, s22
; %bb.418:                              ;   in Loop: Header=BB2_380 Depth=3
	v_or_b32_e32 v73, 0x7b, v2
; %bb.419:                              ;   in Loop: Header=BB2_380 Depth=3
	s_or_b32 exec_lo, exec_lo, s8
                                        ; implicit-def: $vgpr5
                                        ; implicit-def: $vgpr44_vgpr45
                                        ; implicit-def: $vgpr2
.LBB2_420:                              ;   in Loop: Header=BB2_380 Depth=3
	s_and_not1_saveexec_b32 s8, s21
	s_cbranch_execz .LBB2_426
; %bb.421:                              ;   in Loop: Header=BB2_380 Depth=3
	s_mov_b32 s21, exec_lo
                                        ; implicit-def: $vgpr73
	v_cmpx_ne_u64_e32 0, v[44:45]
	s_xor_b32 s21, exec_lo, s21
; %bb.422:                              ;   in Loop: Header=BB2_380 Depth=3
	v_or_b32_e32 v73, 0x7f, v2
                                        ; implicit-def: $vgpr5
; %bb.423:                              ;   in Loop: Header=BB2_380 Depth=3
	s_and_not1_saveexec_b32 s21, s21
; %bb.424:                              ;   in Loop: Header=BB2_380 Depth=3
	v_cmp_lt_i32_e32 vcc_lo, -1, v5
	v_cndmask_b32_e32 v73, 0xfc, v59, vcc_lo
; %bb.425:                              ;   in Loop: Header=BB2_380 Depth=3
	s_or_b32 exec_lo, exec_lo, s21
.LBB2_426:                              ;   in Loop: Header=BB2_380 Depth=3
	s_delay_alu instid0(SALU_CYCLE_1) | instskip(SKIP_3) | instid1(VALU_DEP_2)
	s_or_b32 exec_lo, exec_lo, s8
	v_lshrrev_b16 v44, 8, v4
	v_mov_b32_e32 v5, 0
	s_mov_b32 s8, exec_lo
	v_cmpx_ne_u16_e32 0, v44
	s_cbranch_execz .LBB2_436
; %bb.427:                              ;   in Loop: Header=BB2_380 Depth=3
	v_bfrev_b32_e32 v5, 1
	s_mov_b32 s21, exec_lo
	v_cmpx_ne_u16_e32 0x80, v44
	s_cbranch_execz .LBB2_435
; %bb.428:                              ;   in Loop: Header=BB2_380 Depth=3
	v_and_b32_e32 v45, 0xffff, v44
	s_delay_alu instid0(VALU_DEP_1) | instskip(SKIP_1) | instid1(VALU_DEP_2)
	v_and_b32_e32 v5, 0x7c, v45
	v_and_b32_e32 v2, 3, v45
	v_cmp_ne_u32_e32 vcc_lo, 0x7c, v5
                                        ; implicit-def: $vgpr5
	s_and_saveexec_b32 s22, vcc_lo
	s_delay_alu instid0(SALU_CYCLE_1)
	s_xor_b32 s22, exec_lo, s22
	s_cbranch_execz .LBB2_432
; %bb.429:                              ;   in Loop: Header=BB2_380 Depth=3
	v_bfe_u32 v5, v45, 2, 5
	s_mov_b32 s23, exec_lo
	s_delay_alu instid0(VALU_DEP_1)
	v_cmpx_eq_u32_e32 0, v5
; %bb.430:                              ;   in Loop: Header=BB2_380 Depth=3
	v_clz_i32_u32_e32 v2, v2
	s_delay_alu instid0(VALU_DEP_1) | instskip(SKIP_1) | instid1(VALU_DEP_2)
	v_min_u32_e32 v2, 32, v2
	v_mov_b32_e32 v45, v65
	v_subrev_nc_u32_e32 v5, 29, v2
	s_delay_alu instid0(VALU_DEP_1) | instskip(NEXT) | instid1(VALU_DEP_1)
	v_lshlrev_b64_e32 v[44:45], v5, v[44:45]
	v_dual_sub_nc_u32 v5, 30, v2 :: v_dual_bitop2_b32 v2, 3, v44 bitop3:0x40
; %bb.431:                              ;   in Loop: Header=BB2_380 Depth=3
	s_or_b32 exec_lo, exec_lo, s23
	v_lshlrev_b32_e32 v44, 16, v4
	s_delay_alu instid0(VALU_DEP_1) | instskip(NEXT) | instid1(VALU_DEP_1)
	v_and_b32_e32 v44, 0x80000000, v44
	v_lshl_add_u32 v5, v5, 23, v44
	s_delay_alu instid0(VALU_DEP_1) | instskip(NEXT) | instid1(VALU_DEP_1)
	v_lshl_or_b32 v2, v2, 21, v5
	v_add_nc_u32_e32 v5, 0x38000000, v2
                                        ; implicit-def: $vgpr2
.LBB2_432:                              ;   in Loop: Header=BB2_380 Depth=3
	s_and_not1_saveexec_b32 s22, s22
; %bb.433:                              ;   in Loop: Header=BB2_380 Depth=3
	v_cmp_lt_i16_e32 vcc_lo, -1, v4
	v_cndmask_b32_e32 v5, 0xff800000, v21, vcc_lo
	v_cmp_eq_u32_e32 vcc_lo, 0, v2
	s_delay_alu instid0(VALU_DEP_2)
	v_cndmask_b32_e32 v5, 0x7f800001, v5, vcc_lo
; %bb.434:                              ;   in Loop: Header=BB2_380 Depth=3
	s_or_b32 exec_lo, exec_lo, s22
.LBB2_435:                              ;   in Loop: Header=BB2_380 Depth=3
	s_delay_alu instid0(SALU_CYCLE_1)
	s_or_b32 exec_lo, exec_lo, s21
.LBB2_436:                              ;   in Loop: Header=BB2_380 Depth=3
	s_delay_alu instid0(SALU_CYCLE_1) | instskip(NEXT) | instid1(VALU_DEP_1)
	s_or_b32 exec_lo, exec_lo, s8
	v_dual_mul_f32 v5, v56, v5 :: v_dual_mov_b32 v47, v65
	v_mov_b32_e32 v45, v65
                                        ; implicit-def: $vgpr75
	s_mov_b32 s8, exec_lo
	s_delay_alu instid0(VALU_DEP_2) | instskip(SKIP_2) | instid1(VALU_DEP_3)
	v_and_b32_e32 v46, 0x7f800000, v5
	v_and_b32_e32 v44, 0x7fffff, v5
	v_lshrrev_b32_e32 v2, 24, v5
	v_cmpx_ne_u64_e32 0x7f800000, v[46:47]
	s_xor_b32 s21, exec_lo, s8
	s_cbranch_execz .LBB2_450
; %bb.437:                              ;   in Loop: Header=BB2_380 Depth=3
	v_and_b32_e32 v46, 0x7fffffff, v5
	v_mov_b32_e32 v47, v65
	v_and_b32_e32 v2, 0x80, v2
                                        ; implicit-def: $vgpr75
	s_mov_b32 s8, exec_lo
	s_delay_alu instid0(VALU_DEP_2)
	v_cmpx_gt_u64_e32 0x47600001, v[46:47]
	s_xor_b32 s22, exec_lo, s8
	s_cbranch_execz .LBB2_447
; %bb.438:                              ;   in Loop: Header=BB2_380 Depth=3
	v_mov_b32_e32 v75, 0
	s_mov_b32 s23, exec_lo
	v_cmpx_ne_u32_e32 0, v5
	s_cbranch_execz .LBB2_446
; %bb.439:                              ;   in Loop: Header=BB2_380 Depth=3
	v_bfe_u32 v5, v5, 23, 8
	v_or_b32_e32 v78, 0x800000, v44
	s_delay_alu instid0(VALU_DEP_2) | instskip(SKIP_1) | instid1(VALU_DEP_2)
	v_sub_nc_u32_e32 v46, 0x71, v5
	v_cmp_gt_u32_e32 vcc_lo, 0x72, v5
	v_cndmask_b32_e32 v46, 0, v46, vcc_lo
	v_cmp_eq_u32_e32 vcc_lo, 0, v5
	s_delay_alu instid0(VALU_DEP_2) | instskip(NEXT) | instid1(VALU_DEP_1)
	v_cndmask_b32_e64 v75, v46, 0x70, vcc_lo
	v_dual_cndmask_b32 v44, v78, v44, vcc_lo :: v_dual_add_nc_u32 v46, 21, v75
	v_add_nc_u32_e32 v79, 20, v75
	s_delay_alu instid0(VALU_DEP_2) | instskip(NEXT) | instid1(VALU_DEP_2)
	v_lshlrev_b64_e64 v[46:47], v46, -1
	v_lshlrev_b64_e64 v[78:79], v79, 1
	s_delay_alu instid0(VALU_DEP_2) | instskip(SKIP_1) | instid1(VALU_DEP_4)
	v_bfi_b32 v46, v46, 0, v44
	v_lshrrev_b64 v[44:45], v75, v[44:45]
	v_bfi_b32 v47, v47, 0, 0
	s_delay_alu instid0(VALU_DEP_1) | instskip(NEXT) | instid1(VALU_DEP_3)
	v_cmp_eq_u64_e64 s8, v[46:47], v[78:79]
	v_mov_b64_e32 v[46:47], v[44:45]
	s_and_saveexec_b32 s24, s8
; %bb.440:                              ;   in Loop: Header=BB2_380 Depth=3
	v_bfe_u32 v46, v44, 21, 1
	v_mov_b32_e32 v47, v65
	s_delay_alu instid0(VALU_DEP_1) | instskip(NEXT) | instid1(VALU_DEP_1)
	v_add_nc_u64_e32 v[46:47], v[44:45], v[46:47]
	v_add_nc_u64_e32 v[46:47], -1, v[46:47]
; %bb.441:                              ;   in Loop: Header=BB2_380 Depth=3
	s_or_b32 exec_lo, exec_lo, s24
	v_add_nc_u32_e32 v5, 0xffffff81, v5
	v_lshrrev_b32_e32 v45, 23, v44
	s_mov_b32 s8, exec_lo
	s_delay_alu instid0(VALU_DEP_2) | instskip(NEXT) | instid1(VALU_DEP_1)
	v_cndmask_b32_e64 v5, v5, 0xffffff82, vcc_lo
	v_add3_u32 v47, v75, v5, v45
	v_and_b32_e32 v5, 0x1fffff, v46
	s_delay_alu instid0(VALU_DEP_2) | instskip(NEXT) | instid1(VALU_DEP_2)
	v_dual_mov_b32 v45, v65 :: v_dual_add_nc_u32 v46, 14, v47
	v_add_nc_u32_e32 v44, v5, v44
                                        ; implicit-def: $vgpr5
	s_delay_alu instid0(VALU_DEP_2)
	v_cmpx_ne_u32_e32 0, v46
	s_xor_b32 s8, exec_lo, s8
; %bb.442:                              ;   in Loop: Header=BB2_380 Depth=3
	s_delay_alu instid0(VALU_DEP_2) | instskip(SKIP_1) | instid1(VALU_DEP_1)
	v_cmp_lt_u64_e32 vcc_lo, 0xffffff, v[44:45]
	v_add_nc_u32_e32 v5, 15, v47
	v_cndmask_b32_e32 v5, v46, v5, vcc_lo
	v_cndmask_b32_e64 v46, 0, 1, vcc_lo
	s_delay_alu instid0(VALU_DEP_1)
	v_lshrrev_b64 v[44:45], v46, v[44:45]
; %bb.443:                              ;   in Loop: Header=BB2_380 Depth=3
	s_and_not1_saveexec_b32 s8, s8
; %bb.444:                              ;   in Loop: Header=BB2_380 Depth=3
	s_delay_alu instid0(VALU_DEP_1)
	v_bfe_u32 v5, v44, 23, 1
; %bb.445:                              ;   in Loop: Header=BB2_380 Depth=3
	s_or_b32 exec_lo, exec_lo, s8
	s_delay_alu instid0(VALU_DEP_2) | instskip(NEXT) | instid1(VALU_DEP_2)
	v_lshrrev_b64 v[44:45], 21, v[44:45]
	v_cmp_gt_i32_e32 vcc_lo, 32, v5
	v_min_i32_e32 v46, 31, v5
	v_cmp_eq_u32_e64 s8, 0, v5
	s_delay_alu instid0(VALU_DEP_2) | instskip(SKIP_1) | instid1(VALU_DEP_2)
	v_dual_cndmask_b32 v44, 3, v44, vcc_lo :: v_dual_lshlrev_b32 v46, 2, v46
	v_cndmask_b32_e32 v45, 0, v45, vcc_lo
	v_and_b32_e32 v46, 0xfc, v46
	s_delay_alu instid0(VALU_DEP_2) | instskip(NEXT) | instid1(VALU_DEP_2)
	v_cmp_eq_u64_e32 vcc_lo, 0, v[44:45]
	v_and_or_b32 v5, v44, 3, v46
	s_and_b32 s8, s8, vcc_lo
	s_delay_alu instid0(VALU_DEP_1) | instid1(SALU_CYCLE_1)
	v_cndmask_b32_e64 v5, v5, 0, s8
	s_delay_alu instid0(VALU_DEP_1)
	v_or_b32_e32 v75, v5, v2
.LBB2_446:                              ;   in Loop: Header=BB2_380 Depth=3
	s_or_b32 exec_lo, exec_lo, s23
                                        ; implicit-def: $vgpr2
.LBB2_447:                              ;   in Loop: Header=BB2_380 Depth=3
	s_and_not1_saveexec_b32 s8, s22
; %bb.448:                              ;   in Loop: Header=BB2_380 Depth=3
	v_or_b32_e32 v75, 0x7b, v2
; %bb.449:                              ;   in Loop: Header=BB2_380 Depth=3
	s_or_b32 exec_lo, exec_lo, s8
                                        ; implicit-def: $vgpr5
                                        ; implicit-def: $vgpr44_vgpr45
                                        ; implicit-def: $vgpr2
.LBB2_450:                              ;   in Loop: Header=BB2_380 Depth=3
	s_and_not1_saveexec_b32 s8, s21
	s_cbranch_execz .LBB2_456
; %bb.451:                              ;   in Loop: Header=BB2_380 Depth=3
	s_mov_b32 s21, exec_lo
                                        ; implicit-def: $vgpr75
	v_cmpx_ne_u64_e32 0, v[44:45]
	s_xor_b32 s21, exec_lo, s21
; %bb.452:                              ;   in Loop: Header=BB2_380 Depth=3
	v_or_b32_e32 v75, 0x7f, v2
                                        ; implicit-def: $vgpr5
; %bb.453:                              ;   in Loop: Header=BB2_380 Depth=3
	s_and_not1_saveexec_b32 s21, s21
; %bb.454:                              ;   in Loop: Header=BB2_380 Depth=3
	v_cmp_lt_i32_e32 vcc_lo, -1, v5
	v_cndmask_b32_e32 v75, 0xfc, v59, vcc_lo
; %bb.455:                              ;   in Loop: Header=BB2_380 Depth=3
	s_or_b32 exec_lo, exec_lo, s21
.LBB2_456:                              ;   in Loop: Header=BB2_380 Depth=3
	s_delay_alu instid0(SALU_CYCLE_1) | instskip(SKIP_2) | instid1(VALU_DEP_1)
	s_or_b32 exec_lo, exec_lo, s8
	v_dual_lshrrev_b32 v44, 16, v4 :: v_dual_mov_b32 v2, 0
	s_mov_b32 s8, exec_lo
	v_and_b32_e32 v5, 0xff, v44
	s_delay_alu instid0(VALU_DEP_1)
	v_cmpx_ne_u16_e32 0, v5
	s_cbranch_execz .LBB2_466
; %bb.457:                              ;   in Loop: Header=BB2_380 Depth=3
	v_bfrev_b32_e32 v2, 1
	s_mov_b32 s21, exec_lo
	v_cmpx_ne_u16_e32 0x80, v5
	s_cbranch_execz .LBB2_465
; %bb.458:                              ;   in Loop: Header=BB2_380 Depth=3
	v_and_b32_e32 v2, 0x7c0000, v4
	v_bfe_u32 v5, v4, 16, 2
	s_delay_alu instid0(VALU_DEP_2) | instskip(SKIP_1) | instid1(SALU_CYCLE_1)
	v_cmp_ne_u32_e32 vcc_lo, 0x7c0000, v2
                                        ; implicit-def: $vgpr2
	s_and_saveexec_b32 s22, vcc_lo
	s_xor_b32 s22, exec_lo, s22
	s_cbranch_execz .LBB2_462
; %bb.459:                              ;   in Loop: Header=BB2_380 Depth=3
	v_bfe_u32 v44, v4, 18, 5
	v_lshrrev_b32_e32 v2, 16, v4
	s_mov_b32 s23, exec_lo
	s_delay_alu instid0(VALU_DEP_2)
	v_cmpx_eq_u32_e32 0, v44
; %bb.460:                              ;   in Loop: Header=BB2_380 Depth=3
	v_clz_i32_u32_e32 v5, v5
	s_delay_alu instid0(VALU_DEP_1) | instskip(NEXT) | instid1(VALU_DEP_1)
	v_min_u32_e32 v5, 32, v5
	v_subrev_nc_u32_e32 v44, 29, v5
	s_delay_alu instid0(VALU_DEP_1) | instskip(NEXT) | instid1(VALU_DEP_1)
	v_lshlrev_b64_e32 v[46:47], v44, v[2:3]
	v_dual_sub_nc_u32 v44, 30, v5 :: v_dual_bitop2_b32 v5, 3, v46 bitop3:0x40
; %bb.461:                              ;   in Loop: Header=BB2_380 Depth=3
	s_or_b32 exec_lo, exec_lo, s23
	v_lshlrev_b32_e32 v2, 24, v2
	s_delay_alu instid0(VALU_DEP_1) | instskip(NEXT) | instid1(VALU_DEP_1)
	v_and_b32_e32 v2, 0x80000000, v2
	v_lshl_add_u32 v2, v44, 23, v2
                                        ; implicit-def: $vgpr44
	s_delay_alu instid0(VALU_DEP_1) | instskip(NEXT) | instid1(VALU_DEP_1)
	v_lshl_or_b32 v2, v5, 21, v2
                                        ; implicit-def: $vgpr5
	v_add_nc_u32_e32 v2, 0x38000000, v2
.LBB2_462:                              ;   in Loop: Header=BB2_380 Depth=3
	s_and_not1_saveexec_b32 s22, s22
; %bb.463:                              ;   in Loop: Header=BB2_380 Depth=3
	v_bfe_i32 v2, v44, 0, 8
	s_delay_alu instid0(VALU_DEP_1) | instskip(SKIP_2) | instid1(VALU_DEP_2)
	v_cmp_lt_i16_e32 vcc_lo, -1, v2
	v_cndmask_b32_e32 v2, 0xff800000, v21, vcc_lo
	v_cmp_eq_u32_e32 vcc_lo, 0, v5
	v_cndmask_b32_e32 v2, 0x7f800001, v2, vcc_lo
; %bb.464:                              ;   in Loop: Header=BB2_380 Depth=3
	s_or_b32 exec_lo, exec_lo, s22
.LBB2_465:                              ;   in Loop: Header=BB2_380 Depth=3
	s_delay_alu instid0(SALU_CYCLE_1)
	s_or_b32 exec_lo, exec_lo, s21
.LBB2_466:                              ;   in Loop: Header=BB2_380 Depth=3
	s_delay_alu instid0(SALU_CYCLE_1) | instskip(NEXT) | instid1(VALU_DEP_1)
	s_or_b32 exec_lo, exec_lo, s8
	v_dual_mul_f32 v5, v56, v2 :: v_dual_mov_b32 v47, v65
	v_mov_b32_e32 v45, v65
                                        ; implicit-def: $vgpr79
	s_mov_b32 s8, exec_lo
	s_delay_alu instid0(VALU_DEP_2) | instskip(SKIP_2) | instid1(VALU_DEP_3)
	v_and_b32_e32 v46, 0x7f800000, v5
	v_and_b32_e32 v44, 0x7fffff, v5
	v_lshrrev_b32_e32 v2, 24, v5
	v_cmpx_ne_u64_e32 0x7f800000, v[46:47]
	s_xor_b32 s21, exec_lo, s8
	s_cbranch_execz .LBB2_480
; %bb.467:                              ;   in Loop: Header=BB2_380 Depth=3
	v_and_b32_e32 v46, 0x7fffffff, v5
	v_mov_b32_e32 v47, v65
	v_and_b32_e32 v2, 0x80, v2
                                        ; implicit-def: $vgpr79
	s_mov_b32 s8, exec_lo
	s_delay_alu instid0(VALU_DEP_2)
	v_cmpx_gt_u64_e32 0x47600001, v[46:47]
	s_xor_b32 s22, exec_lo, s8
	s_cbranch_execz .LBB2_477
; %bb.468:                              ;   in Loop: Header=BB2_380 Depth=3
	v_mov_b32_e32 v79, 0
	s_mov_b32 s23, exec_lo
	v_cmpx_ne_u32_e32 0, v5
	s_cbranch_execz .LBB2_476
; %bb.469:                              ;   in Loop: Header=BB2_380 Depth=3
	v_bfe_u32 v5, v5, 23, 8
	v_or_b32_e32 v79, 0x800000, v44
	s_delay_alu instid0(VALU_DEP_2) | instskip(SKIP_1) | instid1(VALU_DEP_2)
	v_sub_nc_u32_e32 v46, 0x71, v5
	v_cmp_gt_u32_e32 vcc_lo, 0x72, v5
	v_cndmask_b32_e32 v46, 0, v46, vcc_lo
	v_cmp_eq_u32_e32 vcc_lo, 0, v5
	v_cndmask_b32_e32 v44, v79, v44, vcc_lo
	s_delay_alu instid0(VALU_DEP_3) | instskip(NEXT) | instid1(VALU_DEP_1)
	v_cndmask_b32_e64 v78, v46, 0x70, vcc_lo
	v_dual_add_nc_u32 v46, 21, v78 :: v_dual_add_nc_u32 v88, 20, v78
	s_delay_alu instid0(VALU_DEP_1) | instskip(NEXT) | instid1(VALU_DEP_2)
	v_lshlrev_b64_e64 v[46:47], v46, -1
	v_lshlrev_b64_e64 v[88:89], v88, 1
	s_delay_alu instid0(VALU_DEP_2) | instskip(SKIP_1) | instid1(VALU_DEP_4)
	v_bfi_b32 v46, v46, 0, v44
	v_lshrrev_b64 v[44:45], v78, v[44:45]
	v_bfi_b32 v47, v47, 0, 0
	s_delay_alu instid0(VALU_DEP_1) | instskip(NEXT) | instid1(VALU_DEP_3)
	v_cmp_eq_u64_e64 s8, v[46:47], v[88:89]
	v_mov_b64_e32 v[46:47], v[44:45]
	s_and_saveexec_b32 s24, s8
; %bb.470:                              ;   in Loop: Header=BB2_380 Depth=3
	v_bfe_u32 v46, v44, 21, 1
	v_mov_b32_e32 v47, v65
	s_delay_alu instid0(VALU_DEP_1) | instskip(NEXT) | instid1(VALU_DEP_1)
	v_add_nc_u64_e32 v[46:47], v[44:45], v[46:47]
	v_add_nc_u64_e32 v[46:47], -1, v[46:47]
; %bb.471:                              ;   in Loop: Header=BB2_380 Depth=3
	s_or_b32 exec_lo, exec_lo, s24
	v_add_nc_u32_e32 v5, 0xffffff81, v5
	v_lshrrev_b32_e32 v45, 23, v44
	s_mov_b32 s8, exec_lo
	s_delay_alu instid0(VALU_DEP_2) | instskip(NEXT) | instid1(VALU_DEP_1)
	v_cndmask_b32_e64 v5, v5, 0xffffff82, vcc_lo
	v_add3_u32 v47, v78, v5, v45
	v_and_b32_e32 v5, 0x1fffff, v46
	s_delay_alu instid0(VALU_DEP_2) | instskip(NEXT) | instid1(VALU_DEP_2)
	v_dual_mov_b32 v45, v65 :: v_dual_add_nc_u32 v46, 14, v47
	v_add_nc_u32_e32 v44, v5, v44
                                        ; implicit-def: $vgpr5
	s_delay_alu instid0(VALU_DEP_2)
	v_cmpx_ne_u32_e32 0, v46
	s_xor_b32 s8, exec_lo, s8
; %bb.472:                              ;   in Loop: Header=BB2_380 Depth=3
	s_delay_alu instid0(VALU_DEP_2) | instskip(SKIP_1) | instid1(VALU_DEP_1)
	v_cmp_lt_u64_e32 vcc_lo, 0xffffff, v[44:45]
	v_add_nc_u32_e32 v5, 15, v47
	v_cndmask_b32_e32 v5, v46, v5, vcc_lo
	v_cndmask_b32_e64 v46, 0, 1, vcc_lo
	s_delay_alu instid0(VALU_DEP_1)
	v_lshrrev_b64 v[44:45], v46, v[44:45]
; %bb.473:                              ;   in Loop: Header=BB2_380 Depth=3
	s_and_not1_saveexec_b32 s8, s8
; %bb.474:                              ;   in Loop: Header=BB2_380 Depth=3
	s_delay_alu instid0(VALU_DEP_1)
	v_bfe_u32 v5, v44, 23, 1
; %bb.475:                              ;   in Loop: Header=BB2_380 Depth=3
	s_or_b32 exec_lo, exec_lo, s8
	s_delay_alu instid0(VALU_DEP_2) | instskip(NEXT) | instid1(VALU_DEP_2)
	v_lshrrev_b64 v[44:45], 21, v[44:45]
	v_cmp_gt_i32_e32 vcc_lo, 32, v5
	v_min_i32_e32 v46, 31, v5
	v_cmp_eq_u32_e64 s8, 0, v5
	s_delay_alu instid0(VALU_DEP_2) | instskip(SKIP_1) | instid1(VALU_DEP_2)
	v_dual_cndmask_b32 v44, 3, v44, vcc_lo :: v_dual_lshlrev_b32 v46, 2, v46
	v_cndmask_b32_e32 v45, 0, v45, vcc_lo
	v_and_b32_e32 v46, 0xfc, v46
	s_delay_alu instid0(VALU_DEP_2) | instskip(NEXT) | instid1(VALU_DEP_2)
	v_cmp_eq_u64_e32 vcc_lo, 0, v[44:45]
	v_and_or_b32 v5, v44, 3, v46
	s_and_b32 s8, s8, vcc_lo
	s_delay_alu instid0(VALU_DEP_1) | instid1(SALU_CYCLE_1)
	v_cndmask_b32_e64 v5, v5, 0, s8
	s_delay_alu instid0(VALU_DEP_1)
	v_or_b32_e32 v79, v5, v2
.LBB2_476:                              ;   in Loop: Header=BB2_380 Depth=3
	s_or_b32 exec_lo, exec_lo, s23
                                        ; implicit-def: $vgpr2
.LBB2_477:                              ;   in Loop: Header=BB2_380 Depth=3
	s_and_not1_saveexec_b32 s8, s22
; %bb.478:                              ;   in Loop: Header=BB2_380 Depth=3
	v_or_b32_e32 v79, 0x7b, v2
; %bb.479:                              ;   in Loop: Header=BB2_380 Depth=3
	s_or_b32 exec_lo, exec_lo, s8
                                        ; implicit-def: $vgpr5
                                        ; implicit-def: $vgpr44_vgpr45
                                        ; implicit-def: $vgpr2
.LBB2_480:                              ;   in Loop: Header=BB2_380 Depth=3
	s_and_not1_saveexec_b32 s8, s21
	s_cbranch_execz .LBB2_486
; %bb.481:                              ;   in Loop: Header=BB2_380 Depth=3
	s_mov_b32 s21, exec_lo
                                        ; implicit-def: $vgpr79
	v_cmpx_ne_u64_e32 0, v[44:45]
	s_xor_b32 s21, exec_lo, s21
; %bb.482:                              ;   in Loop: Header=BB2_380 Depth=3
	v_or_b32_e32 v79, 0x7f, v2
                                        ; implicit-def: $vgpr5
; %bb.483:                              ;   in Loop: Header=BB2_380 Depth=3
	s_and_not1_saveexec_b32 s21, s21
; %bb.484:                              ;   in Loop: Header=BB2_380 Depth=3
	v_cmp_lt_i32_e32 vcc_lo, -1, v5
	v_cndmask_b32_e32 v79, 0xfc, v59, vcc_lo
; %bb.485:                              ;   in Loop: Header=BB2_380 Depth=3
	s_or_b32 exec_lo, exec_lo, s21
.LBB2_486:                              ;   in Loop: Header=BB2_380 Depth=3
	s_delay_alu instid0(SALU_CYCLE_1)
	s_or_b32 exec_lo, exec_lo, s8
	v_mov_b32_e32 v44, 0
	s_mov_b32 s8, exec_lo
	v_cmpx_lt_u32_e32 0xffffff, v4
	s_cbranch_execz .LBB2_496
; %bb.487:                              ;   in Loop: Header=BB2_380 Depth=3
	v_lshrrev_b32_e32 v2, 24, v4
	v_bfrev_b32_e32 v44, 1
	s_mov_b32 s21, exec_lo
	s_delay_alu instid0(VALU_DEP_2)
	v_cmpx_ne_u32_e32 0x80, v2
	s_cbranch_execz .LBB2_495
; %bb.488:                              ;   in Loop: Header=BB2_380 Depth=3
	v_and_b32_e32 v5, 0x7c000000, v4
	v_bfe_u32 v45, v4, 24, 2
	s_mov_b32 s22, exec_lo
                                        ; implicit-def: $vgpr44
	s_delay_alu instid0(VALU_DEP_2)
	v_cmpx_ne_u32_e32 0x7c000000, v5
	s_xor_b32 s22, exec_lo, s22
	s_cbranch_execz .LBB2_492
; %bb.489:                              ;   in Loop: Header=BB2_380 Depth=3
	v_bfe_u32 v5, v4, 26, 5
	s_mov_b32 s23, exec_lo
	s_delay_alu instid0(VALU_DEP_1)
	v_cmpx_eq_u32_e32 0, v5
; %bb.490:                              ;   in Loop: Header=BB2_380 Depth=3
	v_clz_i32_u32_e32 v5, v45
	s_delay_alu instid0(VALU_DEP_1) | instskip(NEXT) | instid1(VALU_DEP_1)
	v_min_u32_e32 v5, 32, v5
	v_subrev_nc_u32_e32 v44, 29, v5
	s_delay_alu instid0(VALU_DEP_1) | instskip(NEXT) | instid1(VALU_DEP_1)
	v_lshlrev_b64_e32 v[44:45], v44, v[2:3]
	v_dual_sub_nc_u32 v5, 30, v5 :: v_dual_bitop2_b32 v45, 3, v44 bitop3:0x40
; %bb.491:                              ;   in Loop: Header=BB2_380 Depth=3
	s_or_b32 exec_lo, exec_lo, s23
	v_and_b32_e32 v2, 0x80000000, v4
	s_delay_alu instid0(VALU_DEP_1) | instskip(NEXT) | instid1(VALU_DEP_1)
	v_lshl_add_u32 v2, v5, 23, v2
                                        ; implicit-def: $vgpr4_vgpr5
	v_lshl_or_b32 v2, v45, 21, v2
                                        ; implicit-def: $vgpr45
	s_delay_alu instid0(VALU_DEP_1)
	v_add_nc_u32_e32 v44, 0x38000000, v2
.LBB2_492:                              ;   in Loop: Header=BB2_380 Depth=3
	s_and_not1_saveexec_b32 s22, s22
; %bb.493:                              ;   in Loop: Header=BB2_380 Depth=3
	v_cmp_lt_i32_e32 vcc_lo, -1, v4
	v_cndmask_b32_e32 v2, 0xff800000, v21, vcc_lo
	v_cmp_eq_u32_e32 vcc_lo, 0, v45
	s_delay_alu instid0(VALU_DEP_2)
	v_cndmask_b32_e32 v44, 0x7f800001, v2, vcc_lo
; %bb.494:                              ;   in Loop: Header=BB2_380 Depth=3
	s_or_b32 exec_lo, exec_lo, s22
.LBB2_495:                              ;   in Loop: Header=BB2_380 Depth=3
	s_delay_alu instid0(SALU_CYCLE_1)
	s_or_b32 exec_lo, exec_lo, s21
.LBB2_496:                              ;   in Loop: Header=BB2_380 Depth=3
	s_delay_alu instid0(SALU_CYCLE_1) | instskip(NEXT) | instid1(VALU_DEP_1)
	s_or_b32 exec_lo, exec_lo, s8
	v_dual_mul_f32 v44, v56, v44 :: v_dual_mov_b32 v47, v65
	v_mov_b32_e32 v5, v65
                                        ; implicit-def: $vgpr88
	s_mov_b32 s8, exec_lo
	s_delay_alu instid0(VALU_DEP_2) | instskip(SKIP_2) | instid1(VALU_DEP_3)
	v_and_b32_e32 v46, 0x7f800000, v44
	v_and_b32_e32 v4, 0x7fffff, v44
	v_lshrrev_b32_e32 v2, 24, v44
	v_cmpx_ne_u64_e32 0x7f800000, v[46:47]
	s_xor_b32 s21, exec_lo, s8
	s_cbranch_execz .LBB2_510
; %bb.497:                              ;   in Loop: Header=BB2_380 Depth=3
	v_and_b32_e32 v46, 0x7fffffff, v44
	v_mov_b32_e32 v47, v65
	v_and_b32_e32 v2, 0x80, v2
                                        ; implicit-def: $vgpr88
	s_mov_b32 s8, exec_lo
	s_delay_alu instid0(VALU_DEP_2)
	v_cmpx_gt_u64_e32 0x47600001, v[46:47]
	s_xor_b32 s22, exec_lo, s8
	s_cbranch_execz .LBB2_507
; %bb.498:                              ;   in Loop: Header=BB2_380 Depth=3
	v_mov_b32_e32 v88, 0
	s_mov_b32 s23, exec_lo
	v_cmpx_ne_u32_e32 0, v44
	s_cbranch_execz .LBB2_506
; %bb.499:                              ;   in Loop: Header=BB2_380 Depth=3
	v_bfe_u32 v46, v44, 23, 8
	v_or_b32_e32 v78, 0x800000, v4
	s_delay_alu instid0(VALU_DEP_2) | instskip(SKIP_1) | instid1(VALU_DEP_2)
	v_sub_nc_u32_e32 v44, 0x71, v46
	v_cmp_gt_u32_e32 vcc_lo, 0x72, v46
	v_cndmask_b32_e32 v44, 0, v44, vcc_lo
	v_cmp_eq_u32_e32 vcc_lo, 0, v46
	s_delay_alu instid0(VALU_DEP_2) | instskip(NEXT) | instid1(VALU_DEP_1)
	v_cndmask_b32_e64 v47, v44, 0x70, vcc_lo
	v_dual_cndmask_b32 v4, v78, v4, vcc_lo :: v_dual_add_nc_u32 v44, 21, v47
	v_add_nc_u32_e32 v88, 20, v47
	s_delay_alu instid0(VALU_DEP_2) | instskip(NEXT) | instid1(VALU_DEP_2)
	v_lshlrev_b64_e64 v[44:45], v44, -1
	v_lshlrev_b64_e64 v[88:89], v88, 1
	s_delay_alu instid0(VALU_DEP_2) | instskip(SKIP_1) | instid1(VALU_DEP_4)
	v_bfi_b32 v44, v44, 0, v4
	v_lshrrev_b64 v[4:5], v47, v[4:5]
	v_bfi_b32 v45, v45, 0, 0
	s_delay_alu instid0(VALU_DEP_1) | instskip(NEXT) | instid1(VALU_DEP_3)
	v_cmp_eq_u64_e64 s8, v[44:45], v[88:89]
	v_mov_b64_e32 v[44:45], v[4:5]
	s_and_saveexec_b32 s24, s8
; %bb.500:                              ;   in Loop: Header=BB2_380 Depth=3
	v_bfe_u32 v44, v4, 21, 1
	v_mov_b32_e32 v45, v65
	s_delay_alu instid0(VALU_DEP_1) | instskip(NEXT) | instid1(VALU_DEP_1)
	v_add_nc_u64_e32 v[44:45], v[4:5], v[44:45]
	v_add_nc_u64_e32 v[44:45], -1, v[44:45]
; %bb.501:                              ;   in Loop: Header=BB2_380 Depth=3
	s_or_b32 exec_lo, exec_lo, s24
	v_add_nc_u32_e32 v5, 0xffffff81, v46
	v_lshrrev_b32_e32 v45, 23, v4
	s_mov_b32 s8, exec_lo
	s_delay_alu instid0(VALU_DEP_2) | instskip(NEXT) | instid1(VALU_DEP_1)
	v_cndmask_b32_e64 v5, v5, 0xffffff82, vcc_lo
	v_add3_u32 v45, v47, v5, v45
	v_and_b32_e32 v5, 0x1fffff, v44
                                        ; implicit-def: $vgpr44
	s_delay_alu instid0(VALU_DEP_1) | instskip(SKIP_1) | instid1(VALU_DEP_2)
	v_dual_add_nc_u32 v46, 14, v45 :: v_dual_add_nc_u32 v4, v5, v4
	v_mov_b32_e32 v5, v65
	v_cmpx_ne_u32_e32 0, v46
	s_xor_b32 s8, exec_lo, s8
; %bb.502:                              ;   in Loop: Header=BB2_380 Depth=3
	s_delay_alu instid0(VALU_DEP_2) | instskip(SKIP_2) | instid1(VALU_DEP_2)
	v_cmp_lt_u64_e32 vcc_lo, 0xffffff, v[4:5]
	v_add_nc_u32_e32 v44, 15, v45
	v_cndmask_b32_e64 v45, 0, 1, vcc_lo
	v_cndmask_b32_e32 v44, v46, v44, vcc_lo
	s_delay_alu instid0(VALU_DEP_2)
	v_lshrrev_b64 v[4:5], v45, v[4:5]
; %bb.503:                              ;   in Loop: Header=BB2_380 Depth=3
	s_and_not1_saveexec_b32 s8, s8
; %bb.504:                              ;   in Loop: Header=BB2_380 Depth=3
	s_delay_alu instid0(VALU_DEP_1)
	v_bfe_u32 v44, v4, 23, 1
; %bb.505:                              ;   in Loop: Header=BB2_380 Depth=3
	s_or_b32 exec_lo, exec_lo, s8
	s_delay_alu instid0(VALU_DEP_2) | instskip(NEXT) | instid1(VALU_DEP_2)
	v_lshrrev_b64 v[4:5], 21, v[4:5]
	v_cmp_gt_i32_e32 vcc_lo, 32, v44
	v_min_i32_e32 v45, 31, v44
	v_cmp_eq_u32_e64 s8, 0, v44
	s_delay_alu instid0(VALU_DEP_4) | instskip(NEXT) | instid1(VALU_DEP_3)
	v_cndmask_b32_e32 v5, 0, v5, vcc_lo
	v_dual_cndmask_b32 v4, 3, v4 :: v_dual_lshlrev_b32 v45, 2, v45
	s_delay_alu instid0(VALU_DEP_1) | instskip(NEXT) | instid1(VALU_DEP_2)
	v_and_b32_e32 v45, 0xfc, v45
	v_cmp_eq_u64_e32 vcc_lo, 0, v[4:5]
	s_delay_alu instid0(VALU_DEP_2)
	v_and_or_b32 v4, v4, 3, v45
	s_and_b32 s8, s8, vcc_lo
	s_delay_alu instid0(VALU_DEP_1) | instid1(SALU_CYCLE_1)
	v_cndmask_b32_e64 v4, v4, 0, s8
	s_delay_alu instid0(VALU_DEP_1)
	v_or_b32_e32 v88, v4, v2
.LBB2_506:                              ;   in Loop: Header=BB2_380 Depth=3
	s_or_b32 exec_lo, exec_lo, s23
                                        ; implicit-def: $vgpr2
.LBB2_507:                              ;   in Loop: Header=BB2_380 Depth=3
	s_and_not1_saveexec_b32 s8, s22
; %bb.508:                              ;   in Loop: Header=BB2_380 Depth=3
	v_or_b32_e32 v88, 0x7b, v2
; %bb.509:                              ;   in Loop: Header=BB2_380 Depth=3
	s_or_b32 exec_lo, exec_lo, s8
                                        ; implicit-def: $vgpr44
                                        ; implicit-def: $vgpr4_vgpr5
                                        ; implicit-def: $vgpr2
.LBB2_510:                              ;   in Loop: Header=BB2_380 Depth=3
	s_and_not1_saveexec_b32 s8, s21
	s_cbranch_execz .LBB2_516
; %bb.511:                              ;   in Loop: Header=BB2_380 Depth=3
	s_mov_b32 s21, exec_lo
                                        ; implicit-def: $vgpr88
	v_cmpx_ne_u64_e32 0, v[4:5]
	s_xor_b32 s21, exec_lo, s21
; %bb.512:                              ;   in Loop: Header=BB2_380 Depth=3
	v_or_b32_e32 v88, 0x7f, v2
                                        ; implicit-def: $vgpr44
; %bb.513:                              ;   in Loop: Header=BB2_380 Depth=3
	s_and_not1_saveexec_b32 s21, s21
; %bb.514:                              ;   in Loop: Header=BB2_380 Depth=3
	v_cmp_lt_i32_e32 vcc_lo, -1, v44
	v_cndmask_b32_e32 v88, 0xfc, v59, vcc_lo
; %bb.515:                              ;   in Loop: Header=BB2_380 Depth=3
	s_or_b32 exec_lo, exec_lo, s21
.LBB2_516:                              ;   in Loop: Header=BB2_380 Depth=3
	s_delay_alu instid0(SALU_CYCLE_1) | instskip(SKIP_2) | instid1(VALU_DEP_2)
	s_or_b32 exec_lo, exec_lo, s8
	v_alignbit_b32 v4, v74, v76, v77
	v_mov_b32_e32 v5, v65
	v_and_b32_e32 v2, 0xff, v4
	s_delay_alu instid0(VALU_DEP_1)
	v_cmp_ne_u16_e32 vcc_lo, 0, v2
	v_mov_b32_e32 v2, 0
	s_and_saveexec_b32 s8, vcc_lo
	s_cbranch_execz .LBB2_526
; %bb.517:                              ;   in Loop: Header=BB2_380 Depth=3
	v_bfe_i32 v45, v4, 0, 8
	v_bfrev_b32_e32 v2, 1
	s_mov_b32 s21, exec_lo
	s_delay_alu instid0(VALU_DEP_2)
	v_cmpx_ne_u16_e32 0xff80, v45
	s_cbranch_execz .LBB2_525
; %bb.518:                              ;   in Loop: Header=BB2_380 Depth=3
	v_and_b32_e32 v2, 0x7c, v4
	v_and_b32_e32 v44, 3, v4
	s_delay_alu instid0(VALU_DEP_2) | instskip(SKIP_1) | instid1(SALU_CYCLE_1)
	v_cmp_ne_u32_e32 vcc_lo, 0x7c, v2
                                        ; implicit-def: $vgpr2
	s_and_saveexec_b32 s22, vcc_lo
	s_xor_b32 s22, exec_lo, s22
	s_cbranch_execz .LBB2_522
; %bb.519:                              ;   in Loop: Header=BB2_380 Depth=3
	v_bfe_u32 v2, v4, 2, 5
	s_mov_b32 s23, exec_lo
	s_delay_alu instid0(VALU_DEP_1)
	v_cmpx_eq_u32_e32 0, v2
; %bb.520:                              ;   in Loop: Header=BB2_380 Depth=3
	v_clz_i32_u32_e32 v2, v44
	s_delay_alu instid0(VALU_DEP_1) | instskip(NEXT) | instid1(VALU_DEP_1)
	v_min_u32_e32 v2, 32, v2
	v_subrev_nc_u32_e32 v44, 29, v2
	s_delay_alu instid0(VALU_DEP_1) | instskip(NEXT) | instid1(VALU_DEP_1)
	v_lshlrev_b64_e32 v[44:45], v44, v[4:5]
	v_dual_sub_nc_u32 v2, 30, v2 :: v_dual_bitop2_b32 v44, 3, v44 bitop3:0x40
; %bb.521:                              ;   in Loop: Header=BB2_380 Depth=3
	s_or_b32 exec_lo, exec_lo, s23
	v_lshlrev_b32_e32 v5, 24, v4
                                        ; implicit-def: $vgpr45
	s_delay_alu instid0(VALU_DEP_1) | instskip(NEXT) | instid1(VALU_DEP_1)
	v_and_b32_e32 v5, 0x80000000, v5
	v_lshl_add_u32 v2, v2, 23, v5
	s_delay_alu instid0(VALU_DEP_1) | instskip(NEXT) | instid1(VALU_DEP_1)
	v_lshl_or_b32 v2, v44, 21, v2
                                        ; implicit-def: $vgpr44
	v_add_nc_u32_e32 v2, 0x38000000, v2
.LBB2_522:                              ;   in Loop: Header=BB2_380 Depth=3
	s_and_not1_saveexec_b32 s22, s22
; %bb.523:                              ;   in Loop: Header=BB2_380 Depth=3
	v_cmp_lt_i16_e32 vcc_lo, -1, v45
	v_cndmask_b32_e32 v2, 0xff800000, v21, vcc_lo
	v_cmp_eq_u32_e32 vcc_lo, 0, v44
	s_delay_alu instid0(VALU_DEP_2)
	v_cndmask_b32_e32 v2, 0x7f800001, v2, vcc_lo
; %bb.524:                              ;   in Loop: Header=BB2_380 Depth=3
	s_or_b32 exec_lo, exec_lo, s22
.LBB2_525:                              ;   in Loop: Header=BB2_380 Depth=3
	s_delay_alu instid0(SALU_CYCLE_1)
	s_or_b32 exec_lo, exec_lo, s21
.LBB2_526:                              ;   in Loop: Header=BB2_380 Depth=3
	s_delay_alu instid0(SALU_CYCLE_1) | instskip(NEXT) | instid1(VALU_DEP_1)
	s_or_b32 exec_lo, exec_lo, s8
	v_dual_mul_f32 v5, v56, v2 :: v_dual_mov_b32 v47, v65
	v_mov_b32_e32 v45, v65
                                        ; implicit-def: $vgpr74
	s_mov_b32 s8, exec_lo
	s_delay_alu instid0(VALU_DEP_2) | instskip(SKIP_2) | instid1(VALU_DEP_3)
	v_and_b32_e32 v46, 0x7f800000, v5
	v_and_b32_e32 v44, 0x7fffff, v5
	v_lshrrev_b32_e32 v2, 24, v5
	v_cmpx_ne_u64_e32 0x7f800000, v[46:47]
	s_xor_b32 s21, exec_lo, s8
	s_cbranch_execz .LBB2_540
; %bb.527:                              ;   in Loop: Header=BB2_380 Depth=3
	v_and_b32_e32 v46, 0x7fffffff, v5
	v_mov_b32_e32 v47, v65
	v_and_b32_e32 v2, 0x80, v2
                                        ; implicit-def: $vgpr74
	s_mov_b32 s8, exec_lo
	s_delay_alu instid0(VALU_DEP_2)
	v_cmpx_gt_u64_e32 0x47600001, v[46:47]
	s_xor_b32 s22, exec_lo, s8
	s_cbranch_execz .LBB2_537
; %bb.528:                              ;   in Loop: Header=BB2_380 Depth=3
	v_mov_b32_e32 v74, 0
	s_mov_b32 s23, exec_lo
	v_cmpx_ne_u32_e32 0, v5
	s_cbranch_execz .LBB2_536
; %bb.529:                              ;   in Loop: Header=BB2_380 Depth=3
	v_bfe_u32 v5, v5, 23, 8
	v_or_b32_e32 v76, 0x800000, v44
	s_delay_alu instid0(VALU_DEP_2) | instskip(SKIP_1) | instid1(VALU_DEP_2)
	v_sub_nc_u32_e32 v46, 0x71, v5
	v_cmp_gt_u32_e32 vcc_lo, 0x72, v5
	v_cndmask_b32_e32 v46, 0, v46, vcc_lo
	v_cmp_eq_u32_e32 vcc_lo, 0, v5
	v_cndmask_b32_e32 v44, v76, v44, vcc_lo
	s_delay_alu instid0(VALU_DEP_3) | instskip(NEXT) | instid1(VALU_DEP_1)
	v_cndmask_b32_e64 v74, v46, 0x70, vcc_lo
	v_dual_add_nc_u32 v46, 21, v74 :: v_dual_add_nc_u32 v77, 20, v74
	s_delay_alu instid0(VALU_DEP_1) | instskip(NEXT) | instid1(VALU_DEP_2)
	v_lshlrev_b64_e64 v[46:47], v46, -1
	v_lshlrev_b64_e64 v[76:77], v77, 1
	s_delay_alu instid0(VALU_DEP_2) | instskip(SKIP_1) | instid1(VALU_DEP_4)
	v_bfi_b32 v46, v46, 0, v44
	v_lshrrev_b64 v[44:45], v74, v[44:45]
	v_bfi_b32 v47, v47, 0, 0
	s_delay_alu instid0(VALU_DEP_1) | instskip(NEXT) | instid1(VALU_DEP_3)
	v_cmp_eq_u64_e64 s8, v[46:47], v[76:77]
	v_mov_b64_e32 v[46:47], v[44:45]
	s_and_saveexec_b32 s24, s8
; %bb.530:                              ;   in Loop: Header=BB2_380 Depth=3
	v_bfe_u32 v46, v44, 21, 1
	v_mov_b32_e32 v47, v65
	s_delay_alu instid0(VALU_DEP_1) | instskip(NEXT) | instid1(VALU_DEP_1)
	v_add_nc_u64_e32 v[46:47], v[44:45], v[46:47]
	v_add_nc_u64_e32 v[46:47], -1, v[46:47]
; %bb.531:                              ;   in Loop: Header=BB2_380 Depth=3
	s_or_b32 exec_lo, exec_lo, s24
	v_add_nc_u32_e32 v5, 0xffffff81, v5
	v_lshrrev_b32_e32 v45, 23, v44
	s_mov_b32 s8, exec_lo
	s_delay_alu instid0(VALU_DEP_2) | instskip(NEXT) | instid1(VALU_DEP_1)
	v_cndmask_b32_e64 v5, v5, 0xffffff82, vcc_lo
	v_add3_u32 v47, v74, v5, v45
	v_and_b32_e32 v5, 0x1fffff, v46
	s_delay_alu instid0(VALU_DEP_2) | instskip(NEXT) | instid1(VALU_DEP_2)
	v_dual_mov_b32 v45, v65 :: v_dual_add_nc_u32 v46, 14, v47
	v_add_nc_u32_e32 v44, v5, v44
                                        ; implicit-def: $vgpr5
	s_delay_alu instid0(VALU_DEP_2)
	v_cmpx_ne_u32_e32 0, v46
	s_xor_b32 s8, exec_lo, s8
; %bb.532:                              ;   in Loop: Header=BB2_380 Depth=3
	s_delay_alu instid0(VALU_DEP_2) | instskip(SKIP_1) | instid1(VALU_DEP_1)
	v_cmp_lt_u64_e32 vcc_lo, 0xffffff, v[44:45]
	v_add_nc_u32_e32 v5, 15, v47
	v_cndmask_b32_e32 v5, v46, v5, vcc_lo
	v_cndmask_b32_e64 v46, 0, 1, vcc_lo
	s_delay_alu instid0(VALU_DEP_1)
	v_lshrrev_b64 v[44:45], v46, v[44:45]
; %bb.533:                              ;   in Loop: Header=BB2_380 Depth=3
	s_and_not1_saveexec_b32 s8, s8
; %bb.534:                              ;   in Loop: Header=BB2_380 Depth=3
	s_delay_alu instid0(VALU_DEP_1)
	v_bfe_u32 v5, v44, 23, 1
; %bb.535:                              ;   in Loop: Header=BB2_380 Depth=3
	s_or_b32 exec_lo, exec_lo, s8
	s_delay_alu instid0(VALU_DEP_2) | instskip(NEXT) | instid1(VALU_DEP_2)
	v_lshrrev_b64 v[44:45], 21, v[44:45]
	v_cmp_gt_i32_e32 vcc_lo, 32, v5
	v_min_i32_e32 v46, 31, v5
	v_cmp_eq_u32_e64 s8, 0, v5
	s_delay_alu instid0(VALU_DEP_2) | instskip(SKIP_1) | instid1(VALU_DEP_2)
	v_dual_cndmask_b32 v44, 3, v44, vcc_lo :: v_dual_lshlrev_b32 v46, 2, v46
	v_cndmask_b32_e32 v45, 0, v45, vcc_lo
	v_and_b32_e32 v46, 0xfc, v46
	s_delay_alu instid0(VALU_DEP_2) | instskip(NEXT) | instid1(VALU_DEP_2)
	v_cmp_eq_u64_e32 vcc_lo, 0, v[44:45]
	v_and_or_b32 v5, v44, 3, v46
	s_and_b32 s8, s8, vcc_lo
	s_delay_alu instid0(VALU_DEP_1) | instid1(SALU_CYCLE_1)
	v_cndmask_b32_e64 v5, v5, 0, s8
	s_delay_alu instid0(VALU_DEP_1)
	v_or_b32_e32 v74, v5, v2
.LBB2_536:                              ;   in Loop: Header=BB2_380 Depth=3
	s_or_b32 exec_lo, exec_lo, s23
                                        ; implicit-def: $vgpr2
.LBB2_537:                              ;   in Loop: Header=BB2_380 Depth=3
	s_and_not1_saveexec_b32 s8, s22
; %bb.538:                              ;   in Loop: Header=BB2_380 Depth=3
	v_or_b32_e32 v74, 0x7b, v2
; %bb.539:                              ;   in Loop: Header=BB2_380 Depth=3
	s_or_b32 exec_lo, exec_lo, s8
                                        ; implicit-def: $vgpr5
                                        ; implicit-def: $vgpr44_vgpr45
                                        ; implicit-def: $vgpr2
.LBB2_540:                              ;   in Loop: Header=BB2_380 Depth=3
	s_and_not1_saveexec_b32 s8, s21
	s_cbranch_execz .LBB2_546
; %bb.541:                              ;   in Loop: Header=BB2_380 Depth=3
	s_mov_b32 s21, exec_lo
                                        ; implicit-def: $vgpr74
	v_cmpx_ne_u64_e32 0, v[44:45]
	s_xor_b32 s21, exec_lo, s21
; %bb.542:                              ;   in Loop: Header=BB2_380 Depth=3
	v_or_b32_e32 v74, 0x7f, v2
                                        ; implicit-def: $vgpr5
; %bb.543:                              ;   in Loop: Header=BB2_380 Depth=3
	s_and_not1_saveexec_b32 s21, s21
; %bb.544:                              ;   in Loop: Header=BB2_380 Depth=3
	v_cmp_lt_i32_e32 vcc_lo, -1, v5
	v_cndmask_b32_e32 v74, 0xfc, v59, vcc_lo
; %bb.545:                              ;   in Loop: Header=BB2_380 Depth=3
	s_or_b32 exec_lo, exec_lo, s21
.LBB2_546:                              ;   in Loop: Header=BB2_380 Depth=3
	s_delay_alu instid0(SALU_CYCLE_1) | instskip(SKIP_3) | instid1(VALU_DEP_2)
	s_or_b32 exec_lo, exec_lo, s8
	v_lshrrev_b16 v44, 8, v4
	v_mov_b32_e32 v5, 0
	s_mov_b32 s8, exec_lo
	v_cmpx_ne_u16_e32 0, v44
	s_cbranch_execz .LBB2_556
; %bb.547:                              ;   in Loop: Header=BB2_380 Depth=3
	v_bfrev_b32_e32 v5, 1
	s_mov_b32 s21, exec_lo
	v_cmpx_ne_u16_e32 0x80, v44
	s_cbranch_execz .LBB2_555
; %bb.548:                              ;   in Loop: Header=BB2_380 Depth=3
	v_and_b32_e32 v45, 0xffff, v44
	s_delay_alu instid0(VALU_DEP_1) | instskip(SKIP_1) | instid1(VALU_DEP_2)
	v_and_b32_e32 v5, 0x7c, v45
	v_and_b32_e32 v2, 3, v45
	v_cmp_ne_u32_e32 vcc_lo, 0x7c, v5
                                        ; implicit-def: $vgpr5
	s_and_saveexec_b32 s22, vcc_lo
	s_delay_alu instid0(SALU_CYCLE_1)
	s_xor_b32 s22, exec_lo, s22
	s_cbranch_execz .LBB2_552
; %bb.549:                              ;   in Loop: Header=BB2_380 Depth=3
	v_bfe_u32 v5, v45, 2, 5
	s_mov_b32 s23, exec_lo
	s_delay_alu instid0(VALU_DEP_1)
	v_cmpx_eq_u32_e32 0, v5
; %bb.550:                              ;   in Loop: Header=BB2_380 Depth=3
	v_clz_i32_u32_e32 v2, v2
	s_delay_alu instid0(VALU_DEP_1) | instskip(SKIP_1) | instid1(VALU_DEP_2)
	v_min_u32_e32 v2, 32, v2
	v_mov_b32_e32 v45, v65
	v_subrev_nc_u32_e32 v5, 29, v2
	s_delay_alu instid0(VALU_DEP_1) | instskip(NEXT) | instid1(VALU_DEP_1)
	v_lshlrev_b64_e32 v[44:45], v5, v[44:45]
	v_dual_sub_nc_u32 v5, 30, v2 :: v_dual_bitop2_b32 v2, 3, v44 bitop3:0x40
; %bb.551:                              ;   in Loop: Header=BB2_380 Depth=3
	s_or_b32 exec_lo, exec_lo, s23
	v_lshlrev_b32_e32 v44, 16, v4
	s_delay_alu instid0(VALU_DEP_1) | instskip(NEXT) | instid1(VALU_DEP_1)
	v_and_b32_e32 v44, 0x80000000, v44
	v_lshl_add_u32 v5, v5, 23, v44
	s_delay_alu instid0(VALU_DEP_1) | instskip(NEXT) | instid1(VALU_DEP_1)
	v_lshl_or_b32 v2, v2, 21, v5
	v_add_nc_u32_e32 v5, 0x38000000, v2
                                        ; implicit-def: $vgpr2
.LBB2_552:                              ;   in Loop: Header=BB2_380 Depth=3
	s_and_not1_saveexec_b32 s22, s22
; %bb.553:                              ;   in Loop: Header=BB2_380 Depth=3
	v_cmp_lt_i16_e32 vcc_lo, -1, v4
	v_cndmask_b32_e32 v5, 0xff800000, v21, vcc_lo
	v_cmp_eq_u32_e32 vcc_lo, 0, v2
	s_delay_alu instid0(VALU_DEP_2)
	v_cndmask_b32_e32 v5, 0x7f800001, v5, vcc_lo
; %bb.554:                              ;   in Loop: Header=BB2_380 Depth=3
	s_or_b32 exec_lo, exec_lo, s22
.LBB2_555:                              ;   in Loop: Header=BB2_380 Depth=3
	s_delay_alu instid0(SALU_CYCLE_1)
	s_or_b32 exec_lo, exec_lo, s21
.LBB2_556:                              ;   in Loop: Header=BB2_380 Depth=3
	s_delay_alu instid0(SALU_CYCLE_1) | instskip(NEXT) | instid1(VALU_DEP_1)
	s_or_b32 exec_lo, exec_lo, s8
	v_dual_mul_f32 v5, v56, v5 :: v_dual_mov_b32 v47, v65
	v_mov_b32_e32 v45, v65
                                        ; implicit-def: $vgpr76
	s_mov_b32 s8, exec_lo
	s_delay_alu instid0(VALU_DEP_2) | instskip(SKIP_2) | instid1(VALU_DEP_3)
	v_and_b32_e32 v46, 0x7f800000, v5
	v_and_b32_e32 v44, 0x7fffff, v5
	v_lshrrev_b32_e32 v2, 24, v5
	v_cmpx_ne_u64_e32 0x7f800000, v[46:47]
	s_xor_b32 s21, exec_lo, s8
	s_cbranch_execz .LBB2_570
; %bb.557:                              ;   in Loop: Header=BB2_380 Depth=3
	v_and_b32_e32 v46, 0x7fffffff, v5
	v_mov_b32_e32 v47, v65
	v_and_b32_e32 v2, 0x80, v2
                                        ; implicit-def: $vgpr76
	s_mov_b32 s8, exec_lo
	s_delay_alu instid0(VALU_DEP_2)
	v_cmpx_gt_u64_e32 0x47600001, v[46:47]
	s_xor_b32 s22, exec_lo, s8
	s_cbranch_execz .LBB2_567
; %bb.558:                              ;   in Loop: Header=BB2_380 Depth=3
	v_mov_b32_e32 v76, 0
	s_mov_b32 s23, exec_lo
	v_cmpx_ne_u32_e32 0, v5
	s_cbranch_execz .LBB2_566
; %bb.559:                              ;   in Loop: Header=BB2_380 Depth=3
	v_bfe_u32 v5, v5, 23, 8
	v_or_b32_e32 v77, 0x800000, v44
	s_delay_alu instid0(VALU_DEP_2) | instskip(SKIP_1) | instid1(VALU_DEP_2)
	v_sub_nc_u32_e32 v46, 0x71, v5
	v_cmp_gt_u32_e32 vcc_lo, 0x72, v5
	v_cndmask_b32_e32 v46, 0, v46, vcc_lo
	v_cmp_eq_u32_e32 vcc_lo, 0, v5
	s_delay_alu instid0(VALU_DEP_2) | instskip(SKIP_1) | instid1(VALU_DEP_2)
	v_cndmask_b32_e64 v76, v46, 0x70, vcc_lo
	v_cndmask_b32_e32 v44, v77, v44, vcc_lo
	v_dual_add_nc_u32 v46, 21, v76 :: v_dual_add_nc_u32 v78, 20, v76
	s_delay_alu instid0(VALU_DEP_1) | instskip(NEXT) | instid1(VALU_DEP_2)
	v_lshlrev_b64_e64 v[46:47], v46, -1
	v_lshlrev_b64_e64 v[90:91], v78, 1
	s_delay_alu instid0(VALU_DEP_2) | instskip(SKIP_1) | instid1(VALU_DEP_4)
	v_bfi_b32 v46, v46, 0, v44
	v_lshrrev_b64 v[44:45], v76, v[44:45]
	v_bfi_b32 v47, v47, 0, 0
	s_delay_alu instid0(VALU_DEP_1) | instskip(NEXT) | instid1(VALU_DEP_3)
	v_cmp_eq_u64_e64 s8, v[46:47], v[90:91]
	v_mov_b64_e32 v[46:47], v[44:45]
	s_and_saveexec_b32 s24, s8
; %bb.560:                              ;   in Loop: Header=BB2_380 Depth=3
	v_bfe_u32 v46, v44, 21, 1
	v_mov_b32_e32 v47, v65
	s_delay_alu instid0(VALU_DEP_1) | instskip(NEXT) | instid1(VALU_DEP_1)
	v_add_nc_u64_e32 v[46:47], v[44:45], v[46:47]
	v_add_nc_u64_e32 v[46:47], -1, v[46:47]
; %bb.561:                              ;   in Loop: Header=BB2_380 Depth=3
	s_or_b32 exec_lo, exec_lo, s24
	v_add_nc_u32_e32 v5, 0xffffff81, v5
	v_lshrrev_b32_e32 v45, 23, v44
	s_mov_b32 s8, exec_lo
	s_delay_alu instid0(VALU_DEP_2) | instskip(NEXT) | instid1(VALU_DEP_1)
	v_cndmask_b32_e64 v5, v5, 0xffffff82, vcc_lo
	v_add3_u32 v47, v76, v5, v45
	v_and_b32_e32 v5, 0x1fffff, v46
	s_delay_alu instid0(VALU_DEP_2) | instskip(NEXT) | instid1(VALU_DEP_2)
	v_dual_mov_b32 v45, v65 :: v_dual_add_nc_u32 v46, 14, v47
	v_add_nc_u32_e32 v44, v5, v44
                                        ; implicit-def: $vgpr5
	s_delay_alu instid0(VALU_DEP_2)
	v_cmpx_ne_u32_e32 0, v46
	s_xor_b32 s8, exec_lo, s8
; %bb.562:                              ;   in Loop: Header=BB2_380 Depth=3
	s_delay_alu instid0(VALU_DEP_2) | instskip(SKIP_1) | instid1(VALU_DEP_1)
	v_cmp_lt_u64_e32 vcc_lo, 0xffffff, v[44:45]
	v_add_nc_u32_e32 v5, 15, v47
	v_cndmask_b32_e32 v5, v46, v5, vcc_lo
	v_cndmask_b32_e64 v46, 0, 1, vcc_lo
	s_delay_alu instid0(VALU_DEP_1)
	v_lshrrev_b64 v[44:45], v46, v[44:45]
; %bb.563:                              ;   in Loop: Header=BB2_380 Depth=3
	s_and_not1_saveexec_b32 s8, s8
; %bb.564:                              ;   in Loop: Header=BB2_380 Depth=3
	s_delay_alu instid0(VALU_DEP_1)
	v_bfe_u32 v5, v44, 23, 1
; %bb.565:                              ;   in Loop: Header=BB2_380 Depth=3
	s_or_b32 exec_lo, exec_lo, s8
	s_delay_alu instid0(VALU_DEP_2) | instskip(NEXT) | instid1(VALU_DEP_2)
	v_lshrrev_b64 v[44:45], 21, v[44:45]
	v_cmp_gt_i32_e32 vcc_lo, 32, v5
	v_min_i32_e32 v46, 31, v5
	v_cmp_eq_u32_e64 s8, 0, v5
	s_delay_alu instid0(VALU_DEP_2) | instskip(SKIP_1) | instid1(VALU_DEP_2)
	v_dual_cndmask_b32 v44, 3, v44, vcc_lo :: v_dual_lshlrev_b32 v46, 2, v46
	v_cndmask_b32_e32 v45, 0, v45, vcc_lo
	v_and_b32_e32 v46, 0xfc, v46
	s_delay_alu instid0(VALU_DEP_2) | instskip(NEXT) | instid1(VALU_DEP_2)
	v_cmp_eq_u64_e32 vcc_lo, 0, v[44:45]
	v_and_or_b32 v5, v44, 3, v46
	s_and_b32 s8, s8, vcc_lo
	s_delay_alu instid0(VALU_DEP_1) | instid1(SALU_CYCLE_1)
	v_cndmask_b32_e64 v5, v5, 0, s8
	s_delay_alu instid0(VALU_DEP_1)
	v_or_b32_e32 v76, v5, v2
.LBB2_566:                              ;   in Loop: Header=BB2_380 Depth=3
	s_or_b32 exec_lo, exec_lo, s23
                                        ; implicit-def: $vgpr2
.LBB2_567:                              ;   in Loop: Header=BB2_380 Depth=3
	s_and_not1_saveexec_b32 s8, s22
; %bb.568:                              ;   in Loop: Header=BB2_380 Depth=3
	v_or_b32_e32 v76, 0x7b, v2
; %bb.569:                              ;   in Loop: Header=BB2_380 Depth=3
	s_or_b32 exec_lo, exec_lo, s8
                                        ; implicit-def: $vgpr5
                                        ; implicit-def: $vgpr44_vgpr45
                                        ; implicit-def: $vgpr2
.LBB2_570:                              ;   in Loop: Header=BB2_380 Depth=3
	s_and_not1_saveexec_b32 s8, s21
	s_cbranch_execz .LBB2_576
; %bb.571:                              ;   in Loop: Header=BB2_380 Depth=3
	s_mov_b32 s21, exec_lo
                                        ; implicit-def: $vgpr76
	v_cmpx_ne_u64_e32 0, v[44:45]
	s_xor_b32 s21, exec_lo, s21
; %bb.572:                              ;   in Loop: Header=BB2_380 Depth=3
	v_or_b32_e32 v76, 0x7f, v2
                                        ; implicit-def: $vgpr5
; %bb.573:                              ;   in Loop: Header=BB2_380 Depth=3
	s_and_not1_saveexec_b32 s21, s21
; %bb.574:                              ;   in Loop: Header=BB2_380 Depth=3
	v_cmp_lt_i32_e32 vcc_lo, -1, v5
	v_cndmask_b32_e32 v76, 0xfc, v59, vcc_lo
; %bb.575:                              ;   in Loop: Header=BB2_380 Depth=3
	s_or_b32 exec_lo, exec_lo, s21
.LBB2_576:                              ;   in Loop: Header=BB2_380 Depth=3
	s_delay_alu instid0(SALU_CYCLE_1) | instskip(SKIP_2) | instid1(VALU_DEP_1)
	s_or_b32 exec_lo, exec_lo, s8
	v_dual_mov_b32 v5, 0 :: v_dual_lshrrev_b32 v2, 16, v4
	s_mov_b32 s8, exec_lo
	v_and_b32_e32 v44, 0xff, v2
	s_delay_alu instid0(VALU_DEP_1)
	v_cmpx_ne_u16_e32 0, v44
	s_cbranch_execz .LBB2_586
; %bb.577:                              ;   in Loop: Header=BB2_380 Depth=3
	v_bfrev_b32_e32 v5, 1
	s_mov_b32 s21, exec_lo
	v_cmpx_ne_u16_e32 0x80, v44
	s_cbranch_execz .LBB2_585
; %bb.578:                              ;   in Loop: Header=BB2_380 Depth=3
	v_and_b32_e32 v5, 0x7c0000, v4
	v_bfe_u32 v44, v4, 16, 2
	s_delay_alu instid0(VALU_DEP_2) | instskip(SKIP_1) | instid1(SALU_CYCLE_1)
	v_cmp_ne_u32_e32 vcc_lo, 0x7c0000, v5
                                        ; implicit-def: $vgpr5
	s_and_saveexec_b32 s22, vcc_lo
	s_xor_b32 s22, exec_lo, s22
	s_cbranch_execz .LBB2_582
; %bb.579:                              ;   in Loop: Header=BB2_380 Depth=3
	v_bfe_u32 v5, v4, 18, 5
	s_mov_b32 s23, exec_lo
	s_delay_alu instid0(VALU_DEP_1)
	v_cmpx_eq_u32_e32 0, v5
; %bb.580:                              ;   in Loop: Header=BB2_380 Depth=3
	v_clz_i32_u32_e32 v5, v44
	s_delay_alu instid0(VALU_DEP_1) | instskip(NEXT) | instid1(VALU_DEP_1)
	v_min_u32_e32 v5, 32, v5
	v_subrev_nc_u32_e32 v44, 29, v5
	s_delay_alu instid0(VALU_DEP_1) | instskip(NEXT) | instid1(VALU_DEP_1)
	v_lshlrev_b64_e32 v[44:45], v44, v[2:3]
	v_dual_sub_nc_u32 v5, 30, v5 :: v_dual_bitop2_b32 v44, 3, v44 bitop3:0x40
; %bb.581:                              ;   in Loop: Header=BB2_380 Depth=3
	s_or_b32 exec_lo, exec_lo, s23
	v_lshlrev_b32_e32 v2, 24, v2
	s_delay_alu instid0(VALU_DEP_1) | instskip(NEXT) | instid1(VALU_DEP_1)
	v_and_b32_e32 v2, 0x80000000, v2
	v_lshl_add_u32 v2, v5, 23, v2
	s_delay_alu instid0(VALU_DEP_1) | instskip(NEXT) | instid1(VALU_DEP_1)
	v_lshl_or_b32 v2, v44, 21, v2
                                        ; implicit-def: $vgpr44
	v_add_nc_u32_e32 v5, 0x38000000, v2
                                        ; implicit-def: $vgpr2
.LBB2_582:                              ;   in Loop: Header=BB2_380 Depth=3
	s_and_not1_saveexec_b32 s22, s22
; %bb.583:                              ;   in Loop: Header=BB2_380 Depth=3
	v_bfe_i32 v2, v2, 0, 8
	s_delay_alu instid0(VALU_DEP_1) | instskip(SKIP_2) | instid1(VALU_DEP_2)
	v_cmp_lt_i16_e32 vcc_lo, -1, v2
	v_cndmask_b32_e32 v2, 0xff800000, v21, vcc_lo
	v_cmp_eq_u32_e32 vcc_lo, 0, v44
	v_cndmask_b32_e32 v5, 0x7f800001, v2, vcc_lo
; %bb.584:                              ;   in Loop: Header=BB2_380 Depth=3
	s_or_b32 exec_lo, exec_lo, s22
.LBB2_585:                              ;   in Loop: Header=BB2_380 Depth=3
	s_delay_alu instid0(SALU_CYCLE_1)
	s_or_b32 exec_lo, exec_lo, s21
.LBB2_586:                              ;   in Loop: Header=BB2_380 Depth=3
	s_delay_alu instid0(SALU_CYCLE_1) | instskip(NEXT) | instid1(VALU_DEP_1)
	s_or_b32 exec_lo, exec_lo, s8
	v_dual_mul_f32 v5, v56, v5 :: v_dual_mov_b32 v47, v65
	v_mov_b32_e32 v45, v65
                                        ; implicit-def: $vgpr77
	s_mov_b32 s8, exec_lo
	s_delay_alu instid0(VALU_DEP_2) | instskip(SKIP_2) | instid1(VALU_DEP_3)
	v_and_b32_e32 v46, 0x7f800000, v5
	v_and_b32_e32 v44, 0x7fffff, v5
	v_lshrrev_b32_e32 v2, 24, v5
	v_cmpx_ne_u64_e32 0x7f800000, v[46:47]
	s_xor_b32 s21, exec_lo, s8
	s_cbranch_execz .LBB2_600
; %bb.587:                              ;   in Loop: Header=BB2_380 Depth=3
	v_and_b32_e32 v46, 0x7fffffff, v5
	v_mov_b32_e32 v47, v65
	v_and_b32_e32 v2, 0x80, v2
                                        ; implicit-def: $vgpr77
	s_mov_b32 s8, exec_lo
	s_delay_alu instid0(VALU_DEP_2)
	v_cmpx_gt_u64_e32 0x47600001, v[46:47]
	s_xor_b32 s22, exec_lo, s8
	s_cbranch_execz .LBB2_597
; %bb.588:                              ;   in Loop: Header=BB2_380 Depth=3
	v_mov_b32_e32 v77, 0
	s_mov_b32 s23, exec_lo
	v_cmpx_ne_u32_e32 0, v5
	s_cbranch_execz .LBB2_596
; %bb.589:                              ;   in Loop: Header=BB2_380 Depth=3
	v_bfe_u32 v5, v5, 23, 8
	v_or_b32_e32 v78, 0x800000, v44
	s_delay_alu instid0(VALU_DEP_2) | instskip(SKIP_1) | instid1(VALU_DEP_2)
	v_sub_nc_u32_e32 v46, 0x71, v5
	v_cmp_gt_u32_e32 vcc_lo, 0x72, v5
	v_cndmask_b32_e32 v46, 0, v46, vcc_lo
	v_cmp_eq_u32_e32 vcc_lo, 0, v5
	s_delay_alu instid0(VALU_DEP_2) | instskip(NEXT) | instid1(VALU_DEP_1)
	v_cndmask_b32_e64 v77, v46, 0x70, vcc_lo
	v_dual_cndmask_b32 v44, v78, v44, vcc_lo :: v_dual_add_nc_u32 v46, 21, v77
	v_add_nc_u32_e32 v89, 20, v77
	s_delay_alu instid0(VALU_DEP_2) | instskip(NEXT) | instid1(VALU_DEP_2)
	v_lshlrev_b64_e64 v[46:47], v46, -1
	v_lshlrev_b64_e64 v[90:91], v89, 1
	s_delay_alu instid0(VALU_DEP_2) | instskip(SKIP_1) | instid1(VALU_DEP_4)
	v_bfi_b32 v46, v46, 0, v44
	v_lshrrev_b64 v[44:45], v77, v[44:45]
	v_bfi_b32 v47, v47, 0, 0
	s_delay_alu instid0(VALU_DEP_1) | instskip(NEXT) | instid1(VALU_DEP_3)
	v_cmp_eq_u64_e64 s8, v[46:47], v[90:91]
	v_mov_b64_e32 v[46:47], v[44:45]
	s_and_saveexec_b32 s24, s8
; %bb.590:                              ;   in Loop: Header=BB2_380 Depth=3
	v_bfe_u32 v46, v44, 21, 1
	v_mov_b32_e32 v47, v65
	s_delay_alu instid0(VALU_DEP_1) | instskip(NEXT) | instid1(VALU_DEP_1)
	v_add_nc_u64_e32 v[46:47], v[44:45], v[46:47]
	v_add_nc_u64_e32 v[46:47], -1, v[46:47]
; %bb.591:                              ;   in Loop: Header=BB2_380 Depth=3
	s_or_b32 exec_lo, exec_lo, s24
	v_add_nc_u32_e32 v5, 0xffffff81, v5
	v_lshrrev_b32_e32 v45, 23, v44
	s_mov_b32 s8, exec_lo
	s_delay_alu instid0(VALU_DEP_2) | instskip(NEXT) | instid1(VALU_DEP_1)
	v_cndmask_b32_e64 v5, v5, 0xffffff82, vcc_lo
	v_add3_u32 v47, v77, v5, v45
	v_and_b32_e32 v5, 0x1fffff, v46
	s_delay_alu instid0(VALU_DEP_2) | instskip(NEXT) | instid1(VALU_DEP_2)
	v_dual_mov_b32 v45, v65 :: v_dual_add_nc_u32 v46, 14, v47
	v_add_nc_u32_e32 v44, v5, v44
                                        ; implicit-def: $vgpr5
	s_delay_alu instid0(VALU_DEP_2)
	v_cmpx_ne_u32_e32 0, v46
	s_xor_b32 s8, exec_lo, s8
; %bb.592:                              ;   in Loop: Header=BB2_380 Depth=3
	s_delay_alu instid0(VALU_DEP_2) | instskip(SKIP_1) | instid1(VALU_DEP_1)
	v_cmp_lt_u64_e32 vcc_lo, 0xffffff, v[44:45]
	v_add_nc_u32_e32 v5, 15, v47
	v_cndmask_b32_e32 v5, v46, v5, vcc_lo
	v_cndmask_b32_e64 v46, 0, 1, vcc_lo
	s_delay_alu instid0(VALU_DEP_1)
	v_lshrrev_b64 v[44:45], v46, v[44:45]
; %bb.593:                              ;   in Loop: Header=BB2_380 Depth=3
	s_and_not1_saveexec_b32 s8, s8
; %bb.594:                              ;   in Loop: Header=BB2_380 Depth=3
	s_delay_alu instid0(VALU_DEP_1)
	v_bfe_u32 v5, v44, 23, 1
; %bb.595:                              ;   in Loop: Header=BB2_380 Depth=3
	s_or_b32 exec_lo, exec_lo, s8
	s_delay_alu instid0(VALU_DEP_2) | instskip(NEXT) | instid1(VALU_DEP_2)
	v_lshrrev_b64 v[44:45], 21, v[44:45]
	v_cmp_gt_i32_e32 vcc_lo, 32, v5
	v_min_i32_e32 v46, 31, v5
	v_cmp_eq_u32_e64 s8, 0, v5
	s_delay_alu instid0(VALU_DEP_2) | instskip(SKIP_1) | instid1(VALU_DEP_2)
	v_dual_cndmask_b32 v44, 3, v44, vcc_lo :: v_dual_lshlrev_b32 v46, 2, v46
	v_cndmask_b32_e32 v45, 0, v45, vcc_lo
	v_and_b32_e32 v46, 0xfc, v46
	s_delay_alu instid0(VALU_DEP_2) | instskip(NEXT) | instid1(VALU_DEP_2)
	v_cmp_eq_u64_e32 vcc_lo, 0, v[44:45]
	v_and_or_b32 v5, v44, 3, v46
	s_and_b32 s8, s8, vcc_lo
	s_delay_alu instid0(VALU_DEP_1) | instid1(SALU_CYCLE_1)
	v_cndmask_b32_e64 v5, v5, 0, s8
	s_delay_alu instid0(VALU_DEP_1)
	v_or_b32_e32 v77, v5, v2
.LBB2_596:                              ;   in Loop: Header=BB2_380 Depth=3
	s_or_b32 exec_lo, exec_lo, s23
                                        ; implicit-def: $vgpr2
.LBB2_597:                              ;   in Loop: Header=BB2_380 Depth=3
	s_and_not1_saveexec_b32 s8, s22
; %bb.598:                              ;   in Loop: Header=BB2_380 Depth=3
	v_or_b32_e32 v77, 0x7b, v2
; %bb.599:                              ;   in Loop: Header=BB2_380 Depth=3
	s_or_b32 exec_lo, exec_lo, s8
                                        ; implicit-def: $vgpr5
                                        ; implicit-def: $vgpr44_vgpr45
                                        ; implicit-def: $vgpr2
.LBB2_600:                              ;   in Loop: Header=BB2_380 Depth=3
	s_and_not1_saveexec_b32 s8, s21
	s_cbranch_execz .LBB2_606
; %bb.601:                              ;   in Loop: Header=BB2_380 Depth=3
	s_mov_b32 s21, exec_lo
                                        ; implicit-def: $vgpr77
	v_cmpx_ne_u64_e32 0, v[44:45]
	s_xor_b32 s21, exec_lo, s21
; %bb.602:                              ;   in Loop: Header=BB2_380 Depth=3
	v_or_b32_e32 v77, 0x7f, v2
                                        ; implicit-def: $vgpr5
; %bb.603:                              ;   in Loop: Header=BB2_380 Depth=3
	s_and_not1_saveexec_b32 s21, s21
; %bb.604:                              ;   in Loop: Header=BB2_380 Depth=3
	v_cmp_lt_i32_e32 vcc_lo, -1, v5
	v_cndmask_b32_e32 v77, 0xfc, v59, vcc_lo
; %bb.605:                              ;   in Loop: Header=BB2_380 Depth=3
	s_or_b32 exec_lo, exec_lo, s21
.LBB2_606:                              ;   in Loop: Header=BB2_380 Depth=3
	s_delay_alu instid0(SALU_CYCLE_1)
	s_or_b32 exec_lo, exec_lo, s8
	v_mov_b32_e32 v44, 0
	s_mov_b32 s8, exec_lo
	v_cmpx_lt_u32_e32 0xffffff, v4
	s_cbranch_execz .LBB2_616
; %bb.607:                              ;   in Loop: Header=BB2_380 Depth=3
	v_lshrrev_b32_e32 v2, 24, v4
	v_bfrev_b32_e32 v44, 1
	s_mov_b32 s21, exec_lo
	s_delay_alu instid0(VALU_DEP_2)
	v_cmpx_ne_u32_e32 0x80, v2
	s_cbranch_execz .LBB2_615
; %bb.608:                              ;   in Loop: Header=BB2_380 Depth=3
	v_and_b32_e32 v5, 0x7c000000, v4
	v_bfe_u32 v45, v4, 24, 2
	s_mov_b32 s22, exec_lo
                                        ; implicit-def: $vgpr44
	s_delay_alu instid0(VALU_DEP_2)
	v_cmpx_ne_u32_e32 0x7c000000, v5
	s_xor_b32 s22, exec_lo, s22
	s_cbranch_execz .LBB2_612
; %bb.609:                              ;   in Loop: Header=BB2_380 Depth=3
	v_bfe_u32 v5, v4, 26, 5
	s_mov_b32 s23, exec_lo
	s_delay_alu instid0(VALU_DEP_1)
	v_cmpx_eq_u32_e32 0, v5
; %bb.610:                              ;   in Loop: Header=BB2_380 Depth=3
	v_clz_i32_u32_e32 v5, v45
	s_delay_alu instid0(VALU_DEP_1) | instskip(NEXT) | instid1(VALU_DEP_1)
	v_min_u32_e32 v5, 32, v5
	v_subrev_nc_u32_e32 v44, 29, v5
	s_delay_alu instid0(VALU_DEP_1) | instskip(NEXT) | instid1(VALU_DEP_1)
	v_lshlrev_b64_e32 v[44:45], v44, v[2:3]
	v_dual_sub_nc_u32 v5, 30, v5 :: v_dual_bitop2_b32 v45, 3, v44 bitop3:0x40
; %bb.611:                              ;   in Loop: Header=BB2_380 Depth=3
	s_or_b32 exec_lo, exec_lo, s23
	v_and_b32_e32 v2, 0x80000000, v4
	s_delay_alu instid0(VALU_DEP_1) | instskip(NEXT) | instid1(VALU_DEP_1)
	v_lshl_add_u32 v2, v5, 23, v2
                                        ; implicit-def: $vgpr4_vgpr5
	v_lshl_or_b32 v2, v45, 21, v2
                                        ; implicit-def: $vgpr45
	s_delay_alu instid0(VALU_DEP_1)
	v_add_nc_u32_e32 v44, 0x38000000, v2
.LBB2_612:                              ;   in Loop: Header=BB2_380 Depth=3
	s_and_not1_saveexec_b32 s22, s22
; %bb.613:                              ;   in Loop: Header=BB2_380 Depth=3
	v_cmp_lt_i32_e32 vcc_lo, -1, v4
	v_cndmask_b32_e32 v2, 0xff800000, v21, vcc_lo
	v_cmp_eq_u32_e32 vcc_lo, 0, v45
	s_delay_alu instid0(VALU_DEP_2)
	v_cndmask_b32_e32 v44, 0x7f800001, v2, vcc_lo
; %bb.614:                              ;   in Loop: Header=BB2_380 Depth=3
	s_or_b32 exec_lo, exec_lo, s22
.LBB2_615:                              ;   in Loop: Header=BB2_380 Depth=3
	s_delay_alu instid0(SALU_CYCLE_1)
	s_or_b32 exec_lo, exec_lo, s21
.LBB2_616:                              ;   in Loop: Header=BB2_380 Depth=3
	s_delay_alu instid0(SALU_CYCLE_1) | instskip(NEXT) | instid1(VALU_DEP_1)
	s_or_b32 exec_lo, exec_lo, s8
	v_dual_mul_f32 v44, v56, v44 :: v_dual_mov_b32 v47, v65
	v_mov_b32_e32 v5, v65
                                        ; implicit-def: $vgpr78
	s_mov_b32 s8, exec_lo
	s_delay_alu instid0(VALU_DEP_2) | instskip(SKIP_2) | instid1(VALU_DEP_3)
	v_and_b32_e32 v46, 0x7f800000, v44
	v_and_b32_e32 v4, 0x7fffff, v44
	v_lshrrev_b32_e32 v2, 24, v44
	v_cmpx_ne_u64_e32 0x7f800000, v[46:47]
	s_xor_b32 s21, exec_lo, s8
	s_cbranch_execz .LBB2_630
; %bb.617:                              ;   in Loop: Header=BB2_380 Depth=3
	v_and_b32_e32 v46, 0x7fffffff, v44
	v_mov_b32_e32 v47, v65
	v_and_b32_e32 v2, 0x80, v2
                                        ; implicit-def: $vgpr78
	s_mov_b32 s8, exec_lo
	s_delay_alu instid0(VALU_DEP_2)
	v_cmpx_gt_u64_e32 0x47600001, v[46:47]
	s_xor_b32 s22, exec_lo, s8
	s_cbranch_execz .LBB2_627
; %bb.618:                              ;   in Loop: Header=BB2_380 Depth=3
	v_mov_b32_e32 v78, 0
	s_mov_b32 s23, exec_lo
	v_cmpx_ne_u32_e32 0, v44
	s_cbranch_execz .LBB2_626
; %bb.619:                              ;   in Loop: Header=BB2_380 Depth=3
	v_bfe_u32 v46, v44, 23, 8
	v_or_b32_e32 v78, 0x800000, v4
	s_delay_alu instid0(VALU_DEP_2) | instskip(SKIP_1) | instid1(VALU_DEP_2)
	v_sub_nc_u32_e32 v44, 0x71, v46
	v_cmp_gt_u32_e32 vcc_lo, 0x72, v46
	v_cndmask_b32_e32 v44, 0, v44, vcc_lo
	v_cmp_eq_u32_e32 vcc_lo, 0, v46
	s_delay_alu instid0(VALU_DEP_2) | instskip(NEXT) | instid1(VALU_DEP_1)
	v_cndmask_b32_e64 v47, v44, 0x70, vcc_lo
	v_dual_cndmask_b32 v4, v78, v4, vcc_lo :: v_dual_add_nc_u32 v44, 21, v47
	v_add_nc_u32_e32 v89, 20, v47
	s_delay_alu instid0(VALU_DEP_2) | instskip(NEXT) | instid1(VALU_DEP_2)
	v_lshlrev_b64_e64 v[44:45], v44, -1
	v_lshlrev_b64_e64 v[90:91], v89, 1
	s_delay_alu instid0(VALU_DEP_2) | instskip(SKIP_1) | instid1(VALU_DEP_4)
	v_bfi_b32 v44, v44, 0, v4
	v_lshrrev_b64 v[4:5], v47, v[4:5]
	v_bfi_b32 v45, v45, 0, 0
	s_delay_alu instid0(VALU_DEP_1) | instskip(NEXT) | instid1(VALU_DEP_3)
	v_cmp_eq_u64_e64 s8, v[44:45], v[90:91]
	v_mov_b64_e32 v[44:45], v[4:5]
	s_and_saveexec_b32 s24, s8
; %bb.620:                              ;   in Loop: Header=BB2_380 Depth=3
	v_bfe_u32 v44, v4, 21, 1
	v_mov_b32_e32 v45, v65
	s_delay_alu instid0(VALU_DEP_1) | instskip(NEXT) | instid1(VALU_DEP_1)
	v_add_nc_u64_e32 v[44:45], v[4:5], v[44:45]
	v_add_nc_u64_e32 v[44:45], -1, v[44:45]
; %bb.621:                              ;   in Loop: Header=BB2_380 Depth=3
	s_or_b32 exec_lo, exec_lo, s24
	v_add_nc_u32_e32 v5, 0xffffff81, v46
	v_lshrrev_b32_e32 v45, 23, v4
	s_mov_b32 s8, exec_lo
	s_delay_alu instid0(VALU_DEP_2) | instskip(NEXT) | instid1(VALU_DEP_1)
	v_cndmask_b32_e64 v5, v5, 0xffffff82, vcc_lo
	v_add3_u32 v45, v47, v5, v45
	v_and_b32_e32 v5, 0x1fffff, v44
                                        ; implicit-def: $vgpr44
	s_delay_alu instid0(VALU_DEP_1) | instskip(SKIP_1) | instid1(VALU_DEP_2)
	v_dual_add_nc_u32 v46, 14, v45 :: v_dual_add_nc_u32 v4, v5, v4
	v_mov_b32_e32 v5, v65
	v_cmpx_ne_u32_e32 0, v46
	s_xor_b32 s8, exec_lo, s8
; %bb.622:                              ;   in Loop: Header=BB2_380 Depth=3
	s_delay_alu instid0(VALU_DEP_2) | instskip(SKIP_2) | instid1(VALU_DEP_2)
	v_cmp_lt_u64_e32 vcc_lo, 0xffffff, v[4:5]
	v_add_nc_u32_e32 v44, 15, v45
	v_cndmask_b32_e64 v45, 0, 1, vcc_lo
	v_cndmask_b32_e32 v44, v46, v44, vcc_lo
	s_delay_alu instid0(VALU_DEP_2)
	v_lshrrev_b64 v[4:5], v45, v[4:5]
; %bb.623:                              ;   in Loop: Header=BB2_380 Depth=3
	s_and_not1_saveexec_b32 s8, s8
; %bb.624:                              ;   in Loop: Header=BB2_380 Depth=3
	s_delay_alu instid0(VALU_DEP_1)
	v_bfe_u32 v44, v4, 23, 1
; %bb.625:                              ;   in Loop: Header=BB2_380 Depth=3
	s_or_b32 exec_lo, exec_lo, s8
	s_delay_alu instid0(VALU_DEP_2) | instskip(NEXT) | instid1(VALU_DEP_2)
	v_lshrrev_b64 v[4:5], 21, v[4:5]
	v_cmp_gt_i32_e32 vcc_lo, 32, v44
	v_min_i32_e32 v45, 31, v44
	v_cmp_eq_u32_e64 s8, 0, v44
	s_delay_alu instid0(VALU_DEP_4) | instskip(NEXT) | instid1(VALU_DEP_3)
	v_cndmask_b32_e32 v5, 0, v5, vcc_lo
	v_dual_cndmask_b32 v4, 3, v4 :: v_dual_lshlrev_b32 v45, 2, v45
	s_delay_alu instid0(VALU_DEP_1) | instskip(NEXT) | instid1(VALU_DEP_2)
	v_and_b32_e32 v45, 0xfc, v45
	v_cmp_eq_u64_e32 vcc_lo, 0, v[4:5]
	s_delay_alu instid0(VALU_DEP_2)
	v_and_or_b32 v4, v4, 3, v45
	s_and_b32 s8, s8, vcc_lo
	s_delay_alu instid0(VALU_DEP_1) | instid1(SALU_CYCLE_1)
	v_cndmask_b32_e64 v4, v4, 0, s8
	s_delay_alu instid0(VALU_DEP_1)
	v_or_b32_e32 v78, v4, v2
.LBB2_626:                              ;   in Loop: Header=BB2_380 Depth=3
	s_or_b32 exec_lo, exec_lo, s23
                                        ; implicit-def: $vgpr2
.LBB2_627:                              ;   in Loop: Header=BB2_380 Depth=3
	s_and_not1_saveexec_b32 s8, s22
; %bb.628:                              ;   in Loop: Header=BB2_380 Depth=3
	v_or_b32_e32 v78, 0x7b, v2
; %bb.629:                              ;   in Loop: Header=BB2_380 Depth=3
	s_or_b32 exec_lo, exec_lo, s8
                                        ; implicit-def: $vgpr44
                                        ; implicit-def: $vgpr4_vgpr5
                                        ; implicit-def: $vgpr2
.LBB2_630:                              ;   in Loop: Header=BB2_380 Depth=3
	s_and_not1_saveexec_b32 s8, s21
	s_cbranch_execz .LBB2_636
; %bb.631:                              ;   in Loop: Header=BB2_380 Depth=3
	s_mov_b32 s21, exec_lo
                                        ; implicit-def: $vgpr78
	v_cmpx_ne_u64_e32 0, v[4:5]
	s_xor_b32 s21, exec_lo, s21
; %bb.632:                              ;   in Loop: Header=BB2_380 Depth=3
	v_or_b32_e32 v78, 0x7f, v2
                                        ; implicit-def: $vgpr44
; %bb.633:                              ;   in Loop: Header=BB2_380 Depth=3
	s_and_not1_saveexec_b32 s21, s21
; %bb.634:                              ;   in Loop: Header=BB2_380 Depth=3
	v_cmp_lt_i32_e32 vcc_lo, -1, v44
	v_cndmask_b32_e32 v78, 0xfc, v59, vcc_lo
; %bb.635:                              ;   in Loop: Header=BB2_380 Depth=3
	s_or_b32 exec_lo, exec_lo, s21
.LBB2_636:                              ;   in Loop: Header=BB2_380 Depth=3
	s_delay_alu instid0(SALU_CYCLE_1) | instskip(SKIP_4) | instid1(VALU_DEP_2)
	s_or_b32 exec_lo, exec_lo, s8
	s_wait_loadcnt 0x0
	v_and_b32_e32 v2, 0xff, v16
	v_dual_mov_b32 v44, 0 :: v_dual_mov_b32 v45, 0
	s_mov_b32 s8, exec_lo
	v_cmpx_ne_u16_e32 0, v2
	s_cbranch_execz .LBB2_646
; %bb.637:                              ;   in Loop: Header=BB2_380 Depth=3
	v_bfe_i32 v4, v16, 0, 8
	v_bfrev_b32_e32 v45, 1
	s_mov_b32 s21, exec_lo
	s_delay_alu instid0(VALU_DEP_2)
	v_cmpx_ne_u16_e32 0xff80, v4
	s_cbranch_execz .LBB2_645
; %bb.638:                              ;   in Loop: Header=BB2_380 Depth=3
	v_and_b32_e32 v5, 0x7c, v16
	v_and_b32_e32 v2, 3, v16
	s_mov_b32 s22, exec_lo
                                        ; implicit-def: $vgpr45
	s_delay_alu instid0(VALU_DEP_2)
	v_cmpx_ne_u32_e32 0x7c, v5
	s_xor_b32 s22, exec_lo, s22
	s_cbranch_execz .LBB2_642
; %bb.639:                              ;   in Loop: Header=BB2_380 Depth=3
	v_bfe_u32 v4, v16, 2, 5
	s_mov_b32 s23, exec_lo
	s_delay_alu instid0(VALU_DEP_1)
	v_cmpx_eq_u32_e32 0, v4
; %bb.640:                              ;   in Loop: Header=BB2_380 Depth=3
	v_clz_i32_u32_e32 v2, v2
	s_delay_alu instid0(VALU_DEP_1) | instskip(NEXT) | instid1(VALU_DEP_1)
	v_min_u32_e32 v2, 32, v2
	v_subrev_nc_u32_e32 v4, 29, v2
	s_delay_alu instid0(VALU_DEP_1) | instskip(SKIP_1) | instid1(VALU_DEP_2)
	v_lshlrev_b64_e32 v[46:47], v4, v[16:17]
	v_sub_nc_u32_e32 v4, 30, v2
	v_and_b32_e32 v2, 3, v46
; %bb.641:                              ;   in Loop: Header=BB2_380 Depth=3
	s_or_b32 exec_lo, exec_lo, s23
	v_lshlrev_b32_e32 v5, 24, v16
	s_delay_alu instid0(VALU_DEP_1) | instskip(NEXT) | instid1(VALU_DEP_1)
	v_and_b32_e32 v5, 0x80000000, v5
	v_lshl_add_u32 v4, v4, 23, v5
	s_delay_alu instid0(VALU_DEP_1) | instskip(NEXT) | instid1(VALU_DEP_1)
	v_lshl_or_b32 v2, v2, 21, v4
                                        ; implicit-def: $vgpr4
	v_add_nc_u32_e32 v45, 0x38000000, v2
                                        ; implicit-def: $vgpr2
.LBB2_642:                              ;   in Loop: Header=BB2_380 Depth=3
	s_and_not1_saveexec_b32 s22, s22
; %bb.643:                              ;   in Loop: Header=BB2_380 Depth=3
	v_cmp_lt_i16_e32 vcc_lo, -1, v4
	v_cndmask_b32_e32 v4, 0xff800000, v21, vcc_lo
	v_cmp_eq_u32_e32 vcc_lo, 0, v2
	s_delay_alu instid0(VALU_DEP_2)
	v_cndmask_b32_e32 v45, 0x7f800001, v4, vcc_lo
; %bb.644:                              ;   in Loop: Header=BB2_380 Depth=3
	s_or_b32 exec_lo, exec_lo, s22
.LBB2_645:                              ;   in Loop: Header=BB2_380 Depth=3
	s_delay_alu instid0(SALU_CYCLE_1)
	s_or_b32 exec_lo, exec_lo, s21
.LBB2_646:                              ;   in Loop: Header=BB2_380 Depth=3
	s_delay_alu instid0(SALU_CYCLE_1) | instskip(SKIP_4) | instid1(VALU_DEP_2)
	s_or_b32 exec_lo, exec_lo, s8
	v_lshl_or_b32 v2, v75, 8, v73
	v_dual_lshlrev_b32 v4, 16, v79 :: v_dual_lshlrev_b32 v17, 24, v88
	v_mov_b32_e32 v5, v65
	s_mov_b32 s8, exec_lo
	v_or3_b32 v4, v4, v17, v2
	v_cmpx_ne_u32_e32 0, v73
	s_cbranch_execz .LBB2_656
; %bb.647:                              ;   in Loop: Header=BB2_380 Depth=3
	v_bfrev_b32_e32 v44, 1
	s_mov_b32 s21, exec_lo
	v_cmpx_ne_u32_e32 0x80, v73
	s_cbranch_execz .LBB2_655
; %bb.648:                              ;   in Loop: Header=BB2_380 Depth=3
	v_and_b32_e32 v44, 0x7c, v73
	v_and_b32_e32 v17, 3, v73
	s_delay_alu instid0(VALU_DEP_2) | instskip(SKIP_1) | instid1(SALU_CYCLE_1)
	v_cmp_ne_u32_e32 vcc_lo, 0x7c, v44
                                        ; implicit-def: $vgpr44
	s_and_saveexec_b32 s22, vcc_lo
	s_xor_b32 s22, exec_lo, s22
	s_cbranch_execz .LBB2_652
; %bb.649:                              ;   in Loop: Header=BB2_380 Depth=3
	v_bfe_u32 v44, v73, 2, 5
	s_mov_b32 s23, exec_lo
	s_delay_alu instid0(VALU_DEP_1)
	v_cmpx_eq_u32_e32 0, v44
; %bb.650:                              ;   in Loop: Header=BB2_380 Depth=3
	v_clz_i32_u32_e32 v17, v17
	s_delay_alu instid0(VALU_DEP_1) | instskip(NEXT) | instid1(VALU_DEP_1)
	v_min_u32_e32 v17, 32, v17
	v_subrev_nc_u32_e32 v44, 29, v17
	s_delay_alu instid0(VALU_DEP_1) | instskip(NEXT) | instid1(VALU_DEP_1)
	v_lshlrev_b64_e32 v[46:47], v44, v[4:5]
	v_dual_sub_nc_u32 v44, 30, v17 :: v_dual_bitop2_b32 v17, 3, v46 bitop3:0x40
; %bb.651:                              ;   in Loop: Header=BB2_380 Depth=3
	s_or_b32 exec_lo, exec_lo, s23
	v_lshlrev_b32_e32 v5, 24, v73
                                        ; implicit-def: $vgpr73
	s_delay_alu instid0(VALU_DEP_1) | instskip(NEXT) | instid1(VALU_DEP_1)
	v_and_b32_e32 v5, 0x80000000, v5
	v_lshl_add_u32 v5, v44, 23, v5
	s_delay_alu instid0(VALU_DEP_1) | instskip(NEXT) | instid1(VALU_DEP_1)
	v_lshl_or_b32 v5, v17, 21, v5
                                        ; implicit-def: $vgpr17
	v_add_nc_u32_e32 v44, 0x38000000, v5
.LBB2_652:                              ;   in Loop: Header=BB2_380 Depth=3
	s_and_not1_saveexec_b32 s22, s22
; %bb.653:                              ;   in Loop: Header=BB2_380 Depth=3
	v_and_b32_e32 v5, 0x80, v73
	s_delay_alu instid0(VALU_DEP_1) | instskip(SKIP_2) | instid1(VALU_DEP_2)
	v_cmp_eq_u32_e32 vcc_lo, 0, v5
	v_cndmask_b32_e32 v5, 0xff800000, v21, vcc_lo
	v_cmp_eq_u32_e32 vcc_lo, 0, v17
	v_cndmask_b32_e32 v44, 0x7f800001, v5, vcc_lo
; %bb.654:                              ;   in Loop: Header=BB2_380 Depth=3
	s_or_b32 exec_lo, exec_lo, s22
.LBB2_655:                              ;   in Loop: Header=BB2_380 Depth=3
	s_delay_alu instid0(SALU_CYCLE_1)
	s_or_b32 exec_lo, exec_lo, s21
.LBB2_656:                              ;   in Loop: Header=BB2_380 Depth=3
	s_delay_alu instid0(SALU_CYCLE_1) | instskip(NEXT) | instid1(VALU_DEP_1)
	s_or_b32 exec_lo, exec_lo, s8
	v_add_f32_e32 v17, v45, v44
	v_dual_mov_b32 v47, v65 :: v_dual_mov_b32 v45, v65
                                        ; implicit-def: $vgpr73
	s_mov_b32 s8, exec_lo
	s_delay_alu instid0(VALU_DEP_2) | instskip(SKIP_2) | instid1(VALU_DEP_3)
	v_and_b32_e32 v46, 0x7f800000, v17
	v_and_b32_e32 v44, 0x7fffff, v17
	v_lshrrev_b32_e32 v5, 24, v17
	v_cmpx_ne_u64_e32 0x7f800000, v[46:47]
	s_xor_b32 s21, exec_lo, s8
	s_cbranch_execz .LBB2_670
; %bb.657:                              ;   in Loop: Header=BB2_380 Depth=3
	v_and_b32_e32 v46, 0x7fffffff, v17
	v_mov_b32_e32 v47, v65
	v_and_b32_e32 v5, 0x80, v5
                                        ; implicit-def: $vgpr73
	s_mov_b32 s8, exec_lo
	s_delay_alu instid0(VALU_DEP_2)
	v_cmpx_gt_u64_e32 0x47600001, v[46:47]
	s_xor_b32 s22, exec_lo, s8
	s_cbranch_execz .LBB2_667
; %bb.658:                              ;   in Loop: Header=BB2_380 Depth=3
	v_mov_b32_e32 v73, 0
	s_mov_b32 s23, exec_lo
	v_cmpx_ne_u32_e32 0, v17
	s_cbranch_execz .LBB2_666
; %bb.659:                              ;   in Loop: Header=BB2_380 Depth=3
	v_bfe_u32 v17, v17, 23, 8
	v_or_b32_e32 v75, 0x800000, v44
	s_delay_alu instid0(VALU_DEP_2) | instskip(SKIP_1) | instid1(VALU_DEP_2)
	v_sub_nc_u32_e32 v46, 0x71, v17
	v_cmp_gt_u32_e32 vcc_lo, 0x72, v17
	v_cndmask_b32_e32 v46, 0, v46, vcc_lo
	v_cmp_eq_u32_e32 vcc_lo, 0, v17
	s_delay_alu instid0(VALU_DEP_2) | instskip(NEXT) | instid1(VALU_DEP_1)
	v_cndmask_b32_e64 v73, v46, 0x70, vcc_lo
	v_dual_cndmask_b32 v44, v75, v44, vcc_lo :: v_dual_add_nc_u32 v46, 21, v73
	v_add_nc_u32_e32 v79, 20, v73
	s_delay_alu instid0(VALU_DEP_2) | instskip(NEXT) | instid1(VALU_DEP_2)
	v_lshlrev_b64_e64 v[46:47], v46, -1
	v_lshlrev_b64_e64 v[88:89], v79, 1
	s_delay_alu instid0(VALU_DEP_2) | instskip(SKIP_1) | instid1(VALU_DEP_4)
	v_bfi_b32 v46, v46, 0, v44
	v_lshrrev_b64 v[44:45], v73, v[44:45]
	v_bfi_b32 v47, v47, 0, 0
	s_delay_alu instid0(VALU_DEP_1) | instskip(NEXT) | instid1(VALU_DEP_3)
	v_cmp_eq_u64_e64 s8, v[46:47], v[88:89]
	v_mov_b64_e32 v[46:47], v[44:45]
	s_and_saveexec_b32 s24, s8
; %bb.660:                              ;   in Loop: Header=BB2_380 Depth=3
	v_bfe_u32 v46, v44, 21, 1
	v_mov_b32_e32 v47, v65
	s_delay_alu instid0(VALU_DEP_1) | instskip(NEXT) | instid1(VALU_DEP_1)
	v_add_nc_u64_e32 v[46:47], v[44:45], v[46:47]
	v_add_nc_u64_e32 v[46:47], -1, v[46:47]
; %bb.661:                              ;   in Loop: Header=BB2_380 Depth=3
	s_or_b32 exec_lo, exec_lo, s24
	v_add_nc_u32_e32 v17, 0xffffff81, v17
	v_lshrrev_b32_e32 v45, 23, v44
	s_mov_b32 s8, exec_lo
	s_delay_alu instid0(VALU_DEP_2) | instskip(NEXT) | instid1(VALU_DEP_1)
	v_cndmask_b32_e64 v17, v17, 0xffffff82, vcc_lo
	v_add3_u32 v47, v73, v17, v45
	v_and_b32_e32 v17, 0x1fffff, v46
	s_delay_alu instid0(VALU_DEP_2) | instskip(NEXT) | instid1(VALU_DEP_2)
	v_dual_mov_b32 v45, v65 :: v_dual_add_nc_u32 v46, 14, v47
	v_add_nc_u32_e32 v44, v17, v44
                                        ; implicit-def: $vgpr17
	s_delay_alu instid0(VALU_DEP_2)
	v_cmpx_ne_u32_e32 0, v46
	s_xor_b32 s8, exec_lo, s8
; %bb.662:                              ;   in Loop: Header=BB2_380 Depth=3
	s_delay_alu instid0(VALU_DEP_2) | instskip(SKIP_1) | instid1(VALU_DEP_1)
	v_cmp_lt_u64_e32 vcc_lo, 0xffffff, v[44:45]
	v_add_nc_u32_e32 v17, 15, v47
	v_cndmask_b32_e32 v17, v46, v17, vcc_lo
	v_cndmask_b32_e64 v46, 0, 1, vcc_lo
	s_delay_alu instid0(VALU_DEP_1)
	v_lshrrev_b64 v[44:45], v46, v[44:45]
; %bb.663:                              ;   in Loop: Header=BB2_380 Depth=3
	s_and_not1_saveexec_b32 s8, s8
; %bb.664:                              ;   in Loop: Header=BB2_380 Depth=3
	s_delay_alu instid0(VALU_DEP_1)
	v_bfe_u32 v17, v44, 23, 1
; %bb.665:                              ;   in Loop: Header=BB2_380 Depth=3
	s_or_b32 exec_lo, exec_lo, s8
	s_delay_alu instid0(VALU_DEP_2) | instskip(NEXT) | instid1(VALU_DEP_2)
	v_lshrrev_b64 v[44:45], 21, v[44:45]
	v_cmp_gt_i32_e32 vcc_lo, 32, v17
	v_min_i32_e32 v46, 31, v17
	v_cmp_eq_u32_e64 s8, 0, v17
	s_delay_alu instid0(VALU_DEP_2) | instskip(SKIP_1) | instid1(VALU_DEP_2)
	v_dual_cndmask_b32 v44, 3, v44, vcc_lo :: v_dual_lshlrev_b32 v46, 2, v46
	v_cndmask_b32_e32 v45, 0, v45, vcc_lo
	v_and_b32_e32 v46, 0xfc, v46
	s_delay_alu instid0(VALU_DEP_2) | instskip(NEXT) | instid1(VALU_DEP_2)
	v_cmp_eq_u64_e32 vcc_lo, 0, v[44:45]
	v_and_or_b32 v17, v44, 3, v46
	s_and_b32 s8, s8, vcc_lo
	s_delay_alu instid0(VALU_DEP_1) | instid1(SALU_CYCLE_1)
	v_cndmask_b32_e64 v17, v17, 0, s8
	s_delay_alu instid0(VALU_DEP_1)
	v_or_b32_e32 v73, v17, v5
.LBB2_666:                              ;   in Loop: Header=BB2_380 Depth=3
	s_or_b32 exec_lo, exec_lo, s23
                                        ; implicit-def: $vgpr5
.LBB2_667:                              ;   in Loop: Header=BB2_380 Depth=3
	s_and_not1_saveexec_b32 s8, s22
; %bb.668:                              ;   in Loop: Header=BB2_380 Depth=3
	v_or_b32_e32 v73, 0x7b, v5
; %bb.669:                              ;   in Loop: Header=BB2_380 Depth=3
	s_or_b32 exec_lo, exec_lo, s8
                                        ; implicit-def: $vgpr17
                                        ; implicit-def: $vgpr44_vgpr45
                                        ; implicit-def: $vgpr5
.LBB2_670:                              ;   in Loop: Header=BB2_380 Depth=3
	s_and_not1_saveexec_b32 s8, s21
	s_cbranch_execz .LBB2_676
; %bb.671:                              ;   in Loop: Header=BB2_380 Depth=3
	s_mov_b32 s21, exec_lo
                                        ; implicit-def: $vgpr73
	v_cmpx_ne_u64_e32 0, v[44:45]
	s_xor_b32 s21, exec_lo, s21
; %bb.672:                              ;   in Loop: Header=BB2_380 Depth=3
	v_or_b32_e32 v73, 0x7f, v5
                                        ; implicit-def: $vgpr17
; %bb.673:                              ;   in Loop: Header=BB2_380 Depth=3
	s_and_not1_saveexec_b32 s21, s21
; %bb.674:                              ;   in Loop: Header=BB2_380 Depth=3
	v_cmp_lt_i32_e32 vcc_lo, -1, v17
	v_cndmask_b32_e32 v73, 0xfc, v59, vcc_lo
; %bb.675:                              ;   in Loop: Header=BB2_380 Depth=3
	s_or_b32 exec_lo, exec_lo, s21
.LBB2_676:                              ;   in Loop: Header=BB2_380 Depth=3
	s_delay_alu instid0(SALU_CYCLE_1) | instskip(SKIP_3) | instid1(VALU_DEP_2)
	s_or_b32 exec_lo, exec_lo, s8
	v_lshrrev_b16 v44, 8, v16
	v_dual_mov_b32 v5, 0 :: v_dual_mov_b32 v17, 0
	s_mov_b32 s8, exec_lo
	v_cmpx_ne_u16_e32 0, v44
	s_cbranch_execz .LBB2_686
; %bb.677:                              ;   in Loop: Header=BB2_380 Depth=3
	v_bfrev_b32_e32 v17, 1
	s_mov_b32 s21, exec_lo
	v_cmpx_ne_u16_e32 0x80, v44
	s_cbranch_execz .LBB2_685
; %bb.678:                              ;   in Loop: Header=BB2_380 Depth=3
	v_and_b32_e32 v46, 0xffff, v44
	s_delay_alu instid0(VALU_DEP_1) | instskip(SKIP_1) | instid1(VALU_DEP_2)
	v_and_b32_e32 v17, 0x7c, v46
	v_and_b32_e32 v45, 3, v46
	v_cmp_ne_u32_e32 vcc_lo, 0x7c, v17
                                        ; implicit-def: $vgpr17
	s_and_saveexec_b32 s22, vcc_lo
	s_delay_alu instid0(SALU_CYCLE_1)
	s_xor_b32 s22, exec_lo, s22
	s_cbranch_execz .LBB2_682
; %bb.679:                              ;   in Loop: Header=BB2_380 Depth=3
	v_bfe_u32 v17, v46, 2, 5
	s_mov_b32 s23, exec_lo
	s_delay_alu instid0(VALU_DEP_1)
	v_cmpx_eq_u32_e32 0, v17
	s_cbranch_execz .LBB2_681
; %bb.680:                              ;   in Loop: Header=BB2_380 Depth=3
	v_clz_i32_u32_e32 v17, v45
	s_delay_alu instid0(VALU_DEP_1) | instskip(SKIP_1) | instid1(VALU_DEP_2)
	v_min_u32_e32 v17, 32, v17
	v_mov_b32_e32 v45, v65
	v_subrev_nc_u32_e32 v46, 29, v17
	v_sub_nc_u32_e32 v17, 30, v17
	s_delay_alu instid0(VALU_DEP_2) | instskip(NEXT) | instid1(VALU_DEP_1)
	v_lshlrev_b64_e32 v[44:45], v46, v[44:45]
	v_and_b32_e32 v45, 3, v44
.LBB2_681:                              ;   in Loop: Header=BB2_380 Depth=3
	s_or_b32 exec_lo, exec_lo, s23
	v_lshlrev_b32_e32 v44, 16, v16
	s_delay_alu instid0(VALU_DEP_1) | instskip(NEXT) | instid1(VALU_DEP_1)
	v_and_b32_e32 v44, 0x80000000, v44
	v_lshl_add_u32 v17, v17, 23, v44
	s_delay_alu instid0(VALU_DEP_1) | instskip(NEXT) | instid1(VALU_DEP_1)
	v_lshl_or_b32 v17, v45, 21, v17
                                        ; implicit-def: $vgpr45
	v_add_nc_u32_e32 v17, 0x38000000, v17
.LBB2_682:                              ;   in Loop: Header=BB2_380 Depth=3
	s_and_not1_saveexec_b32 s22, s22
; %bb.683:                              ;   in Loop: Header=BB2_380 Depth=3
	v_cmp_lt_i16_e32 vcc_lo, -1, v16
	v_cndmask_b32_e32 v17, 0xff800000, v21, vcc_lo
	v_cmp_eq_u32_e32 vcc_lo, 0, v45
	s_delay_alu instid0(VALU_DEP_2)
	v_cndmask_b32_e32 v17, 0x7f800001, v17, vcc_lo
; %bb.684:                              ;   in Loop: Header=BB2_380 Depth=3
	s_or_b32 exec_lo, exec_lo, s22
.LBB2_685:                              ;   in Loop: Header=BB2_380 Depth=3
	s_delay_alu instid0(SALU_CYCLE_1)
	s_or_b32 exec_lo, exec_lo, s21
.LBB2_686:                              ;   in Loop: Header=BB2_380 Depth=3
	s_delay_alu instid0(SALU_CYCLE_1) | instskip(SKIP_2) | instid1(VALU_DEP_1)
	s_or_b32 exec_lo, exec_lo, s8
	v_lshrrev_b16 v44, 8, v2
	s_mov_b32 s8, exec_lo
	v_cmpx_ne_u16_e32 0, v44
	s_cbranch_execz .LBB2_696
; %bb.687:                              ;   in Loop: Header=BB2_380 Depth=3
	v_bfrev_b32_e32 v5, 1
	s_mov_b32 s21, exec_lo
	v_cmpx_ne_u16_e32 0x80, v44
	s_cbranch_execz .LBB2_695
; %bb.688:                              ;   in Loop: Header=BB2_380 Depth=3
	v_and_b32_e32 v46, 0xffff, v44
	s_delay_alu instid0(VALU_DEP_1) | instskip(SKIP_1) | instid1(VALU_DEP_2)
	v_and_b32_e32 v5, 0x7c, v46
	v_and_b32_e32 v45, 3, v46
	v_cmp_ne_u32_e32 vcc_lo, 0x7c, v5
                                        ; implicit-def: $vgpr5
	s_and_saveexec_b32 s22, vcc_lo
	s_delay_alu instid0(SALU_CYCLE_1)
	s_xor_b32 s22, exec_lo, s22
	s_cbranch_execz .LBB2_692
; %bb.689:                              ;   in Loop: Header=BB2_380 Depth=3
	v_bfe_u32 v5, v46, 2, 5
	s_mov_b32 s23, exec_lo
	s_delay_alu instid0(VALU_DEP_1)
	v_cmpx_eq_u32_e32 0, v5
	s_cbranch_execz .LBB2_691
; %bb.690:                              ;   in Loop: Header=BB2_380 Depth=3
	v_clz_i32_u32_e32 v5, v45
	s_delay_alu instid0(VALU_DEP_1) | instskip(SKIP_1) | instid1(VALU_DEP_2)
	v_min_u32_e32 v5, 32, v5
	v_mov_b32_e32 v45, v65
	v_subrev_nc_u32_e32 v46, 29, v5
	v_sub_nc_u32_e32 v5, 30, v5
	s_delay_alu instid0(VALU_DEP_2) | instskip(NEXT) | instid1(VALU_DEP_1)
	v_lshlrev_b64_e32 v[44:45], v46, v[44:45]
	v_and_b32_e32 v45, 3, v44
.LBB2_691:                              ;   in Loop: Header=BB2_380 Depth=3
	s_or_b32 exec_lo, exec_lo, s23
	v_lshlrev_b32_e32 v2, 16, v2
	s_delay_alu instid0(VALU_DEP_1) | instskip(NEXT) | instid1(VALU_DEP_1)
	v_and_b32_e32 v2, 0x80000000, v2
	v_lshl_add_u32 v2, v5, 23, v2
	s_delay_alu instid0(VALU_DEP_1) | instskip(NEXT) | instid1(VALU_DEP_1)
	v_lshl_or_b32 v2, v45, 21, v2
                                        ; implicit-def: $vgpr45
	v_add_nc_u32_e32 v5, 0x38000000, v2
                                        ; implicit-def: $vgpr2
.LBB2_692:                              ;   in Loop: Header=BB2_380 Depth=3
	s_and_not1_saveexec_b32 s22, s22
; %bb.693:                              ;   in Loop: Header=BB2_380 Depth=3
	v_cmp_lt_i16_e32 vcc_lo, -1, v2
	v_cndmask_b32_e32 v2, 0xff800000, v21, vcc_lo
	v_cmp_eq_u32_e32 vcc_lo, 0, v45
	s_delay_alu instid0(VALU_DEP_2)
	v_cndmask_b32_e32 v5, 0x7f800001, v2, vcc_lo
; %bb.694:                              ;   in Loop: Header=BB2_380 Depth=3
	s_or_b32 exec_lo, exec_lo, s22
.LBB2_695:                              ;   in Loop: Header=BB2_380 Depth=3
	s_delay_alu instid0(SALU_CYCLE_1)
	s_or_b32 exec_lo, exec_lo, s21
.LBB2_696:                              ;   in Loop: Header=BB2_380 Depth=3
	s_delay_alu instid0(SALU_CYCLE_1) | instskip(NEXT) | instid1(VALU_DEP_1)
	s_or_b32 exec_lo, exec_lo, s8
	v_add_f32_e32 v5, v17, v5
	v_dual_mov_b32 v47, v65 :: v_dual_mov_b32 v45, v65
                                        ; implicit-def: $vgpr75
	s_mov_b32 s8, exec_lo
	s_delay_alu instid0(VALU_DEP_2) | instskip(SKIP_2) | instid1(VALU_DEP_3)
	v_and_b32_e32 v46, 0x7f800000, v5
	v_and_b32_e32 v44, 0x7fffff, v5
	v_lshrrev_b32_e32 v2, 24, v5
	v_cmpx_ne_u64_e32 0x7f800000, v[46:47]
	s_xor_b32 s21, exec_lo, s8
	s_cbranch_execz .LBB2_710
; %bb.697:                              ;   in Loop: Header=BB2_380 Depth=3
	v_and_b32_e32 v46, 0x7fffffff, v5
	v_mov_b32_e32 v47, v65
	v_and_b32_e32 v2, 0x80, v2
                                        ; implicit-def: $vgpr75
	s_mov_b32 s8, exec_lo
	s_delay_alu instid0(VALU_DEP_2)
	v_cmpx_gt_u64_e32 0x47600001, v[46:47]
	s_xor_b32 s22, exec_lo, s8
	s_cbranch_execz .LBB2_707
; %bb.698:                              ;   in Loop: Header=BB2_380 Depth=3
	v_mov_b32_e32 v75, 0
	s_mov_b32 s23, exec_lo
	v_cmpx_ne_u32_e32 0, v5
	s_cbranch_execz .LBB2_706
; %bb.699:                              ;   in Loop: Header=BB2_380 Depth=3
	v_bfe_u32 v5, v5, 23, 8
	v_or_b32_e32 v75, 0x800000, v44
	s_delay_alu instid0(VALU_DEP_2) | instskip(SKIP_1) | instid1(VALU_DEP_2)
	v_sub_nc_u32_e32 v17, 0x71, v5
	v_cmp_gt_u32_e32 vcc_lo, 0x72, v5
	v_cndmask_b32_e32 v17, 0, v17, vcc_lo
	v_cmp_eq_u32_e32 vcc_lo, 0, v5
	s_delay_alu instid0(VALU_DEP_2) | instskip(NEXT) | instid1(VALU_DEP_1)
	v_cndmask_b32_e64 v17, v17, 0x70, vcc_lo
	v_dual_cndmask_b32 v44, v75, v44, vcc_lo :: v_dual_add_nc_u32 v46, 21, v17
	v_add_nc_u32_e32 v79, 20, v17
	s_delay_alu instid0(VALU_DEP_2) | instskip(NEXT) | instid1(VALU_DEP_2)
	v_lshlrev_b64_e64 v[46:47], v46, -1
	v_lshlrev_b64_e64 v[88:89], v79, 1
	s_delay_alu instid0(VALU_DEP_2) | instskip(SKIP_1) | instid1(VALU_DEP_4)
	v_bfi_b32 v46, v46, 0, v44
	v_lshrrev_b64 v[44:45], v17, v[44:45]
	v_bfi_b32 v47, v47, 0, 0
	s_delay_alu instid0(VALU_DEP_1) | instskip(NEXT) | instid1(VALU_DEP_3)
	v_cmp_eq_u64_e64 s8, v[46:47], v[88:89]
	v_mov_b64_e32 v[46:47], v[44:45]
	s_and_saveexec_b32 s24, s8
; %bb.700:                              ;   in Loop: Header=BB2_380 Depth=3
	v_bfe_u32 v46, v44, 21, 1
	v_mov_b32_e32 v47, v65
	s_delay_alu instid0(VALU_DEP_1) | instskip(NEXT) | instid1(VALU_DEP_1)
	v_add_nc_u64_e32 v[46:47], v[44:45], v[46:47]
	v_add_nc_u64_e32 v[46:47], -1, v[46:47]
; %bb.701:                              ;   in Loop: Header=BB2_380 Depth=3
	s_or_b32 exec_lo, exec_lo, s24
	v_add_nc_u32_e32 v5, 0xffffff81, v5
	v_lshrrev_b32_e32 v45, 23, v44
	s_mov_b32 s8, exec_lo
	s_delay_alu instid0(VALU_DEP_2) | instskip(NEXT) | instid1(VALU_DEP_1)
	v_cndmask_b32_e64 v5, v5, 0xffffff82, vcc_lo
	v_add3_u32 v17, v17, v5, v45
	v_and_b32_e32 v5, 0x1fffff, v46
	s_delay_alu instid0(VALU_DEP_2) | instskip(NEXT) | instid1(VALU_DEP_2)
	v_dual_mov_b32 v45, v65 :: v_dual_add_nc_u32 v46, 14, v17
	v_add_nc_u32_e32 v44, v5, v44
                                        ; implicit-def: $vgpr5
	s_delay_alu instid0(VALU_DEP_2)
	v_cmpx_ne_u32_e32 0, v46
	s_xor_b32 s8, exec_lo, s8
; %bb.702:                              ;   in Loop: Header=BB2_380 Depth=3
	s_delay_alu instid0(VALU_DEP_2) | instskip(SKIP_2) | instid1(VALU_DEP_2)
	v_cmp_lt_u64_e32 vcc_lo, 0xffffff, v[44:45]
	v_add_nc_u32_e32 v5, 15, v17
	v_cndmask_b32_e64 v17, 0, 1, vcc_lo
	v_cndmask_b32_e32 v5, v46, v5, vcc_lo
	s_delay_alu instid0(VALU_DEP_2)
	v_lshrrev_b64 v[44:45], v17, v[44:45]
; %bb.703:                              ;   in Loop: Header=BB2_380 Depth=3
	s_and_not1_saveexec_b32 s8, s8
; %bb.704:                              ;   in Loop: Header=BB2_380 Depth=3
	s_delay_alu instid0(VALU_DEP_1)
	v_bfe_u32 v5, v44, 23, 1
; %bb.705:                              ;   in Loop: Header=BB2_380 Depth=3
	s_or_b32 exec_lo, exec_lo, s8
	s_delay_alu instid0(VALU_DEP_2) | instskip(NEXT) | instid1(VALU_DEP_2)
	v_lshrrev_b64 v[44:45], 21, v[44:45]
	v_cmp_gt_i32_e32 vcc_lo, 32, v5
	v_min_i32_e32 v17, 31, v5
	v_cmp_eq_u32_e64 s8, 0, v5
	s_delay_alu instid0(VALU_DEP_2) | instskip(SKIP_1) | instid1(VALU_DEP_2)
	v_dual_cndmask_b32 v44, 3, v44 :: v_dual_lshlrev_b32 v17, 2, v17
	v_cndmask_b32_e32 v45, 0, v45, vcc_lo
	v_and_b32_e32 v17, 0xfc, v17
	s_delay_alu instid0(VALU_DEP_2) | instskip(NEXT) | instid1(VALU_DEP_2)
	v_cmp_eq_u64_e32 vcc_lo, 0, v[44:45]
	v_and_or_b32 v5, v44, 3, v17
	s_and_b32 s8, s8, vcc_lo
	s_delay_alu instid0(VALU_DEP_1) | instid1(SALU_CYCLE_1)
	v_cndmask_b32_e64 v5, v5, 0, s8
	s_delay_alu instid0(VALU_DEP_1)
	v_or_b32_e32 v75, v5, v2
.LBB2_706:                              ;   in Loop: Header=BB2_380 Depth=3
	s_or_b32 exec_lo, exec_lo, s23
                                        ; implicit-def: $vgpr2
.LBB2_707:                              ;   in Loop: Header=BB2_380 Depth=3
	s_and_not1_saveexec_b32 s8, s22
; %bb.708:                              ;   in Loop: Header=BB2_380 Depth=3
	v_or_b32_e32 v75, 0x7b, v2
; %bb.709:                              ;   in Loop: Header=BB2_380 Depth=3
	s_or_b32 exec_lo, exec_lo, s8
                                        ; implicit-def: $vgpr5
                                        ; implicit-def: $vgpr44_vgpr45
                                        ; implicit-def: $vgpr2
.LBB2_710:                              ;   in Loop: Header=BB2_380 Depth=3
	s_and_not1_saveexec_b32 s8, s21
	s_cbranch_execz .LBB2_716
; %bb.711:                              ;   in Loop: Header=BB2_380 Depth=3
	s_mov_b32 s21, exec_lo
                                        ; implicit-def: $vgpr75
	v_cmpx_ne_u64_e32 0, v[44:45]
	s_xor_b32 s21, exec_lo, s21
; %bb.712:                              ;   in Loop: Header=BB2_380 Depth=3
	v_or_b32_e32 v75, 0x7f, v2
                                        ; implicit-def: $vgpr5
; %bb.713:                              ;   in Loop: Header=BB2_380 Depth=3
	s_and_not1_saveexec_b32 s21, s21
; %bb.714:                              ;   in Loop: Header=BB2_380 Depth=3
	v_cmp_lt_i32_e32 vcc_lo, -1, v5
	v_cndmask_b32_e32 v75, 0xfc, v59, vcc_lo
; %bb.715:                              ;   in Loop: Header=BB2_380 Depth=3
	s_or_b32 exec_lo, exec_lo, s21
.LBB2_716:                              ;   in Loop: Header=BB2_380 Depth=3
	s_delay_alu instid0(SALU_CYCLE_1) | instskip(SKIP_3) | instid1(VALU_DEP_2)
	s_or_b32 exec_lo, exec_lo, s8
	v_dual_mov_b32 v17, 0 :: v_dual_lshrrev_b32 v2, 16, v16
	v_mov_b32_e32 v5, 0
	s_mov_b32 s8, exec_lo
	v_and_b32_e32 v44, 0xff, v2
	s_delay_alu instid0(VALU_DEP_1)
	v_cmpx_ne_u16_e32 0, v44
	s_cbranch_execz .LBB2_726
; %bb.717:                              ;   in Loop: Header=BB2_380 Depth=3
	v_bfrev_b32_e32 v5, 1
	s_mov_b32 s21, exec_lo
	v_cmpx_ne_u16_e32 0x80, v44
	s_cbranch_execz .LBB2_725
; %bb.718:                              ;   in Loop: Header=BB2_380 Depth=3
	v_and_b32_e32 v5, 0x7c0000, v16
	v_bfe_u32 v44, v16, 16, 2
	s_delay_alu instid0(VALU_DEP_2) | instskip(SKIP_1) | instid1(SALU_CYCLE_1)
	v_cmp_ne_u32_e32 vcc_lo, 0x7c0000, v5
                                        ; implicit-def: $vgpr5
	s_and_saveexec_b32 s22, vcc_lo
	s_xor_b32 s22, exec_lo, s22
	s_cbranch_execz .LBB2_722
; %bb.719:                              ;   in Loop: Header=BB2_380 Depth=3
	v_bfe_u32 v5, v16, 18, 5
	s_mov_b32 s23, exec_lo
	s_delay_alu instid0(VALU_DEP_1)
	v_cmpx_eq_u32_e32 0, v5
; %bb.720:                              ;   in Loop: Header=BB2_380 Depth=3
	v_clz_i32_u32_e32 v5, v44
	s_delay_alu instid0(VALU_DEP_1) | instskip(NEXT) | instid1(VALU_DEP_1)
	v_min_u32_e32 v5, 32, v5
	v_subrev_nc_u32_e32 v44, 29, v5
	s_delay_alu instid0(VALU_DEP_1) | instskip(NEXT) | instid1(VALU_DEP_1)
	v_lshlrev_b64_e32 v[44:45], v44, v[2:3]
	v_dual_sub_nc_u32 v5, 30, v5 :: v_dual_bitop2_b32 v44, 3, v44 bitop3:0x40
; %bb.721:                              ;   in Loop: Header=BB2_380 Depth=3
	s_or_b32 exec_lo, exec_lo, s23
	v_lshlrev_b32_e32 v2, 24, v2
	s_delay_alu instid0(VALU_DEP_1) | instskip(NEXT) | instid1(VALU_DEP_1)
	v_and_b32_e32 v2, 0x80000000, v2
	v_lshl_add_u32 v2, v5, 23, v2
	s_delay_alu instid0(VALU_DEP_1) | instskip(NEXT) | instid1(VALU_DEP_1)
	v_lshl_or_b32 v2, v44, 21, v2
                                        ; implicit-def: $vgpr44
	v_add_nc_u32_e32 v5, 0x38000000, v2
                                        ; implicit-def: $vgpr2
.LBB2_722:                              ;   in Loop: Header=BB2_380 Depth=3
	s_and_not1_saveexec_b32 s22, s22
; %bb.723:                              ;   in Loop: Header=BB2_380 Depth=3
	v_bfe_i32 v2, v2, 0, 8
	s_delay_alu instid0(VALU_DEP_1) | instskip(SKIP_2) | instid1(VALU_DEP_2)
	v_cmp_lt_i16_e32 vcc_lo, -1, v2
	v_cndmask_b32_e32 v2, 0xff800000, v21, vcc_lo
	v_cmp_eq_u32_e32 vcc_lo, 0, v44
	v_cndmask_b32_e32 v5, 0x7f800001, v2, vcc_lo
; %bb.724:                              ;   in Loop: Header=BB2_380 Depth=3
	s_or_b32 exec_lo, exec_lo, s22
.LBB2_725:                              ;   in Loop: Header=BB2_380 Depth=3
	s_delay_alu instid0(SALU_CYCLE_1)
	s_or_b32 exec_lo, exec_lo, s21
.LBB2_726:                              ;   in Loop: Header=BB2_380 Depth=3
	s_delay_alu instid0(SALU_CYCLE_1) | instskip(SKIP_2) | instid1(VALU_DEP_1)
	s_or_b32 exec_lo, exec_lo, s8
	v_lshrrev_b32_e32 v2, 16, v4
	s_mov_b32 s8, exec_lo
	v_and_b32_e32 v44, 0xff, v2
	s_delay_alu instid0(VALU_DEP_1)
	v_cmpx_ne_u16_e32 0, v44
	s_cbranch_execz .LBB2_736
; %bb.727:                              ;   in Loop: Header=BB2_380 Depth=3
	v_bfrev_b32_e32 v17, 1
	s_mov_b32 s21, exec_lo
	v_cmpx_ne_u16_e32 0x80, v44
	s_cbranch_execz .LBB2_735
; %bb.728:                              ;   in Loop: Header=BB2_380 Depth=3
	v_and_b32_e32 v17, 0x7c0000, v4
	v_bfe_u32 v44, v4, 16, 2
	s_delay_alu instid0(VALU_DEP_2) | instskip(SKIP_1) | instid1(SALU_CYCLE_1)
	v_cmp_ne_u32_e32 vcc_lo, 0x7c0000, v17
                                        ; implicit-def: $vgpr17
	s_and_saveexec_b32 s22, vcc_lo
	s_xor_b32 s22, exec_lo, s22
	s_cbranch_execz .LBB2_732
; %bb.729:                              ;   in Loop: Header=BB2_380 Depth=3
	v_bfe_u32 v17, v4, 18, 5
	v_lshrrev_b32_e32 v2, 16, v4
	s_mov_b32 s23, exec_lo
	s_delay_alu instid0(VALU_DEP_2)
	v_cmpx_eq_u32_e32 0, v17
; %bb.730:                              ;   in Loop: Header=BB2_380 Depth=3
	v_clz_i32_u32_e32 v17, v44
	s_delay_alu instid0(VALU_DEP_1) | instskip(NEXT) | instid1(VALU_DEP_1)
	v_min_u32_e32 v17, 32, v17
	v_subrev_nc_u32_e32 v44, 29, v17
	s_delay_alu instid0(VALU_DEP_1) | instskip(NEXT) | instid1(VALU_DEP_1)
	v_lshlrev_b64_e32 v[44:45], v44, v[2:3]
	v_dual_sub_nc_u32 v17, 30, v17 :: v_dual_bitop2_b32 v44, 3, v44 bitop3:0x40
; %bb.731:                              ;   in Loop: Header=BB2_380 Depth=3
	s_or_b32 exec_lo, exec_lo, s23
	v_lshlrev_b32_e32 v2, 24, v2
	s_delay_alu instid0(VALU_DEP_1) | instskip(NEXT) | instid1(VALU_DEP_1)
	v_and_b32_e32 v2, 0x80000000, v2
	v_lshl_add_u32 v2, v17, 23, v2
	s_delay_alu instid0(VALU_DEP_1) | instskip(NEXT) | instid1(VALU_DEP_1)
	v_lshl_or_b32 v2, v44, 21, v2
                                        ; implicit-def: $vgpr44
	v_add_nc_u32_e32 v17, 0x38000000, v2
                                        ; implicit-def: $vgpr2
.LBB2_732:                              ;   in Loop: Header=BB2_380 Depth=3
	s_and_not1_saveexec_b32 s22, s22
; %bb.733:                              ;   in Loop: Header=BB2_380 Depth=3
	v_bfe_i32 v2, v2, 0, 8
	s_delay_alu instid0(VALU_DEP_1) | instskip(SKIP_2) | instid1(VALU_DEP_2)
	v_cmp_lt_i16_e32 vcc_lo, -1, v2
	v_cndmask_b32_e32 v2, 0xff800000, v21, vcc_lo
	v_cmp_eq_u32_e32 vcc_lo, 0, v44
	v_cndmask_b32_e32 v17, 0x7f800001, v2, vcc_lo
; %bb.734:                              ;   in Loop: Header=BB2_380 Depth=3
	s_or_b32 exec_lo, exec_lo, s22
.LBB2_735:                              ;   in Loop: Header=BB2_380 Depth=3
	s_delay_alu instid0(SALU_CYCLE_1)
	s_or_b32 exec_lo, exec_lo, s21
.LBB2_736:                              ;   in Loop: Header=BB2_380 Depth=3
	s_delay_alu instid0(SALU_CYCLE_1) | instskip(NEXT) | instid1(VALU_DEP_1)
	s_or_b32 exec_lo, exec_lo, s8
	v_add_f32_e32 v5, v5, v17
	v_dual_mov_b32 v47, v65 :: v_dual_mov_b32 v45, v65
	s_delay_alu instid0(VALU_DEP_2) | instskip(SKIP_2) | instid1(VALU_DEP_3)
	v_and_b32_e32 v46, 0x7f800000, v5
	v_and_b32_e32 v44, 0x7fffff, v5
	v_lshrrev_b32_e32 v2, 24, v5
	v_cmp_ne_u64_e32 vcc_lo, 0x7f800000, v[46:47]
                                        ; implicit-def: $vgpr46
	s_and_saveexec_b32 s8, vcc_lo
	s_delay_alu instid0(SALU_CYCLE_1)
	s_xor_b32 s21, exec_lo, s8
	s_cbranch_execz .LBB2_750
; %bb.737:                              ;   in Loop: Header=BB2_380 Depth=3
	v_and_b32_e32 v46, 0x7fffffff, v5
	v_mov_b32_e32 v47, v65
	v_and_b32_e32 v2, 0x80, v2
	s_delay_alu instid0(VALU_DEP_2) | instskip(SKIP_1) | instid1(SALU_CYCLE_1)
	v_cmp_gt_u64_e32 vcc_lo, 0x47600001, v[46:47]
                                        ; implicit-def: $vgpr46
	s_and_saveexec_b32 s8, vcc_lo
	s_xor_b32 s22, exec_lo, s8
	s_cbranch_execz .LBB2_747
; %bb.738:                              ;   in Loop: Header=BB2_380 Depth=3
	v_mov_b32_e32 v46, 0
	s_mov_b32 s23, exec_lo
	v_cmpx_ne_u32_e32 0, v5
	s_cbranch_execz .LBB2_746
; %bb.739:                              ;   in Loop: Header=BB2_380 Depth=3
	v_bfe_u32 v5, v5, 23, 8
	v_or_b32_e32 v79, 0x800000, v44
	s_delay_alu instid0(VALU_DEP_2) | instskip(SKIP_1) | instid1(VALU_DEP_2)
	v_sub_nc_u32_e32 v17, 0x71, v5
	v_cmp_gt_u32_e32 vcc_lo, 0x72, v5
	v_cndmask_b32_e32 v17, 0, v17, vcc_lo
	v_cmp_eq_u32_e32 vcc_lo, 0, v5
	s_delay_alu instid0(VALU_DEP_2) | instskip(NEXT) | instid1(VALU_DEP_1)
	v_cndmask_b32_e64 v17, v17, 0x70, vcc_lo
	v_dual_cndmask_b32 v44, v79, v44, vcc_lo :: v_dual_add_nc_u32 v46, 21, v17
	v_add_nc_u32_e32 v88, 20, v17
	s_delay_alu instid0(VALU_DEP_2) | instskip(NEXT) | instid1(VALU_DEP_2)
	v_lshlrev_b64_e64 v[46:47], v46, -1
	v_lshlrev_b64_e64 v[88:89], v88, 1
	s_delay_alu instid0(VALU_DEP_2) | instskip(SKIP_1) | instid1(VALU_DEP_4)
	v_bfi_b32 v46, v46, 0, v44
	v_lshrrev_b64 v[44:45], v17, v[44:45]
	v_bfi_b32 v47, v47, 0, 0
	s_delay_alu instid0(VALU_DEP_1) | instskip(NEXT) | instid1(VALU_DEP_3)
	v_cmp_eq_u64_e64 s8, v[46:47], v[88:89]
	v_mov_b64_e32 v[46:47], v[44:45]
	s_and_saveexec_b32 s24, s8
; %bb.740:                              ;   in Loop: Header=BB2_380 Depth=3
	v_bfe_u32 v46, v44, 21, 1
	v_mov_b32_e32 v47, v65
	s_delay_alu instid0(VALU_DEP_1) | instskip(NEXT) | instid1(VALU_DEP_1)
	v_add_nc_u64_e32 v[46:47], v[44:45], v[46:47]
	v_add_nc_u64_e32 v[46:47], -1, v[46:47]
; %bb.741:                              ;   in Loop: Header=BB2_380 Depth=3
	s_or_b32 exec_lo, exec_lo, s24
	v_add_nc_u32_e32 v5, 0xffffff81, v5
	v_lshrrev_b32_e32 v45, 23, v44
	s_mov_b32 s8, exec_lo
	s_delay_alu instid0(VALU_DEP_2) | instskip(NEXT) | instid1(VALU_DEP_1)
	v_cndmask_b32_e64 v5, v5, 0xffffff82, vcc_lo
	v_add3_u32 v17, v17, v5, v45
	v_and_b32_e32 v5, 0x1fffff, v46
	s_delay_alu instid0(VALU_DEP_2) | instskip(NEXT) | instid1(VALU_DEP_2)
	v_dual_mov_b32 v45, v65 :: v_dual_add_nc_u32 v46, 14, v17
	v_add_nc_u32_e32 v44, v5, v44
                                        ; implicit-def: $vgpr5
	s_delay_alu instid0(VALU_DEP_2)
	v_cmpx_ne_u32_e32 0, v46
	s_xor_b32 s8, exec_lo, s8
; %bb.742:                              ;   in Loop: Header=BB2_380 Depth=3
	s_delay_alu instid0(VALU_DEP_2) | instskip(SKIP_2) | instid1(VALU_DEP_2)
	v_cmp_lt_u64_e32 vcc_lo, 0xffffff, v[44:45]
	v_add_nc_u32_e32 v5, 15, v17
	v_cndmask_b32_e64 v17, 0, 1, vcc_lo
	v_cndmask_b32_e32 v5, v46, v5, vcc_lo
	s_delay_alu instid0(VALU_DEP_2)
	v_lshrrev_b64 v[44:45], v17, v[44:45]
; %bb.743:                              ;   in Loop: Header=BB2_380 Depth=3
	s_and_not1_saveexec_b32 s8, s8
; %bb.744:                              ;   in Loop: Header=BB2_380 Depth=3
	s_delay_alu instid0(VALU_DEP_1)
	v_bfe_u32 v5, v44, 23, 1
; %bb.745:                              ;   in Loop: Header=BB2_380 Depth=3
	s_or_b32 exec_lo, exec_lo, s8
	s_delay_alu instid0(VALU_DEP_2) | instskip(NEXT) | instid1(VALU_DEP_2)
	v_lshrrev_b64 v[44:45], 21, v[44:45]
	v_cmp_gt_i32_e32 vcc_lo, 32, v5
	v_min_i32_e32 v17, 31, v5
	v_cmp_eq_u32_e64 s8, 0, v5
	s_delay_alu instid0(VALU_DEP_2) | instskip(SKIP_1) | instid1(VALU_DEP_2)
	v_dual_cndmask_b32 v44, 3, v44 :: v_dual_lshlrev_b32 v17, 2, v17
	v_cndmask_b32_e32 v45, 0, v45, vcc_lo
	v_and_b32_e32 v17, 0xfc, v17
	s_delay_alu instid0(VALU_DEP_2) | instskip(NEXT) | instid1(VALU_DEP_2)
	v_cmp_eq_u64_e32 vcc_lo, 0, v[44:45]
	v_and_or_b32 v5, v44, 3, v17
	s_and_b32 s8, s8, vcc_lo
	s_delay_alu instid0(VALU_DEP_1) | instid1(SALU_CYCLE_1)
	v_cndmask_b32_e64 v5, v5, 0, s8
	s_delay_alu instid0(VALU_DEP_1)
	v_or_b32_e32 v46, v5, v2
.LBB2_746:                              ;   in Loop: Header=BB2_380 Depth=3
	s_or_b32 exec_lo, exec_lo, s23
                                        ; implicit-def: $vgpr2
.LBB2_747:                              ;   in Loop: Header=BB2_380 Depth=3
	s_and_not1_saveexec_b32 s8, s22
; %bb.748:                              ;   in Loop: Header=BB2_380 Depth=3
	v_or_b32_e32 v46, 0x7b, v2
; %bb.749:                              ;   in Loop: Header=BB2_380 Depth=3
	s_or_b32 exec_lo, exec_lo, s8
                                        ; implicit-def: $vgpr5
                                        ; implicit-def: $vgpr44_vgpr45
                                        ; implicit-def: $vgpr2
.LBB2_750:                              ;   in Loop: Header=BB2_380 Depth=3
	s_and_not1_saveexec_b32 s8, s21
	s_cbranch_execz .LBB2_756
; %bb.751:                              ;   in Loop: Header=BB2_380 Depth=3
	s_mov_b32 s21, exec_lo
                                        ; implicit-def: $vgpr46
	v_cmpx_ne_u64_e32 0, v[44:45]
	s_xor_b32 s21, exec_lo, s21
; %bb.752:                              ;   in Loop: Header=BB2_380 Depth=3
	v_or_b32_e32 v46, 0x7f, v2
                                        ; implicit-def: $vgpr5
; %bb.753:                              ;   in Loop: Header=BB2_380 Depth=3
	s_and_not1_saveexec_b32 s21, s21
; %bb.754:                              ;   in Loop: Header=BB2_380 Depth=3
	v_cmp_lt_i32_e32 vcc_lo, -1, v5
	v_cndmask_b32_e32 v46, 0xfc, v59, vcc_lo
; %bb.755:                              ;   in Loop: Header=BB2_380 Depth=3
	s_or_b32 exec_lo, exec_lo, s21
.LBB2_756:                              ;   in Loop: Header=BB2_380 Depth=3
	s_delay_alu instid0(SALU_CYCLE_1)
	s_or_b32 exec_lo, exec_lo, s8
	v_dual_mov_b32 v17, 0 :: v_dual_mov_b32 v44, 0
	s_mov_b32 s8, exec_lo
	v_cmpx_lt_u32_e32 0xffffff, v16
	s_cbranch_execz .LBB2_766
; %bb.757:                              ;   in Loop: Header=BB2_380 Depth=3
	v_lshrrev_b32_e32 v2, 24, v16
	v_bfrev_b32_e32 v44, 1
	s_mov_b32 s21, exec_lo
	s_delay_alu instid0(VALU_DEP_2)
	v_cmpx_ne_u32_e32 0x80, v2
	s_cbranch_execz .LBB2_765
; %bb.758:                              ;   in Loop: Header=BB2_380 Depth=3
	v_and_b32_e32 v44, 0x7c000000, v16
	v_bfe_u32 v5, v16, 24, 2
	s_delay_alu instid0(VALU_DEP_2) | instskip(SKIP_1) | instid1(SALU_CYCLE_1)
	v_cmp_ne_u32_e32 vcc_lo, 0x7c000000, v44
                                        ; implicit-def: $vgpr44
	s_and_saveexec_b32 s22, vcc_lo
	s_xor_b32 s22, exec_lo, s22
	s_cbranch_execz .LBB2_762
; %bb.759:                              ;   in Loop: Header=BB2_380 Depth=3
	v_bfe_u32 v44, v16, 26, 5
	s_mov_b32 s23, exec_lo
	s_delay_alu instid0(VALU_DEP_1)
	v_cmpx_eq_u32_e32 0, v44
; %bb.760:                              ;   in Loop: Header=BB2_380 Depth=3
	v_clz_i32_u32_e32 v5, v5
	s_delay_alu instid0(VALU_DEP_1) | instskip(NEXT) | instid1(VALU_DEP_1)
	v_min_u32_e32 v5, 32, v5
	v_subrev_nc_u32_e32 v44, 29, v5
	s_delay_alu instid0(VALU_DEP_1) | instskip(NEXT) | instid1(VALU_DEP_1)
	v_lshlrev_b64_e32 v[88:89], v44, v[2:3]
	v_dual_sub_nc_u32 v44, 30, v5 :: v_dual_bitop2_b32 v5, 3, v88 bitop3:0x40
; %bb.761:                              ;   in Loop: Header=BB2_380 Depth=3
	s_or_b32 exec_lo, exec_lo, s23
	v_and_b32_e32 v2, 0x80000000, v16
	s_delay_alu instid0(VALU_DEP_1) | instskip(NEXT) | instid1(VALU_DEP_1)
	v_lshl_add_u32 v2, v44, 23, v2
	v_lshl_or_b32 v2, v5, 21, v2
                                        ; implicit-def: $vgpr5
	s_delay_alu instid0(VALU_DEP_1)
	v_add_nc_u32_e32 v44, 0x38000000, v2
.LBB2_762:                              ;   in Loop: Header=BB2_380 Depth=3
	s_and_not1_saveexec_b32 s22, s22
; %bb.763:                              ;   in Loop: Header=BB2_380 Depth=3
	v_cmp_lt_i32_e32 vcc_lo, -1, v16
	v_cndmask_b32_e32 v2, 0xff800000, v21, vcc_lo
	v_cmp_eq_u32_e32 vcc_lo, 0, v5
	s_delay_alu instid0(VALU_DEP_2)
	v_cndmask_b32_e32 v44, 0x7f800001, v2, vcc_lo
; %bb.764:                              ;   in Loop: Header=BB2_380 Depth=3
	s_or_b32 exec_lo, exec_lo, s22
.LBB2_765:                              ;   in Loop: Header=BB2_380 Depth=3
	s_delay_alu instid0(SALU_CYCLE_1)
	s_or_b32 exec_lo, exec_lo, s21
.LBB2_766:                              ;   in Loop: Header=BB2_380 Depth=3
	s_delay_alu instid0(SALU_CYCLE_1) | instskip(NEXT) | instid1(SALU_CYCLE_1)
	s_or_b32 exec_lo, exec_lo, s8
	s_mov_b32 s8, exec_lo
	v_cmpx_lt_u32_e32 0xffffff, v4
	s_cbranch_execz .LBB2_776
; %bb.767:                              ;   in Loop: Header=BB2_380 Depth=3
	v_lshrrev_b32_e32 v2, 24, v4
	v_bfrev_b32_e32 v17, 1
	s_mov_b32 s21, exec_lo
	s_delay_alu instid0(VALU_DEP_2)
	v_cmpx_ne_u32_e32 0x80, v2
	s_cbranch_execz .LBB2_775
; %bb.768:                              ;   in Loop: Header=BB2_380 Depth=3
	v_and_b32_e32 v5, 0x7c000000, v4
	v_bfe_u32 v16, v4, 24, 2
	s_mov_b32 s22, exec_lo
                                        ; implicit-def: $vgpr17
	s_delay_alu instid0(VALU_DEP_2)
	v_cmpx_ne_u32_e32 0x7c000000, v5
	s_xor_b32 s22, exec_lo, s22
	s_cbranch_execz .LBB2_772
; %bb.769:                              ;   in Loop: Header=BB2_380 Depth=3
	v_bfe_u32 v5, v4, 26, 5
	s_mov_b32 s23, exec_lo
	s_delay_alu instid0(VALU_DEP_1)
	v_cmpx_eq_u32_e32 0, v5
; %bb.770:                              ;   in Loop: Header=BB2_380 Depth=3
	v_clz_i32_u32_e32 v5, v16
	s_delay_alu instid0(VALU_DEP_1) | instskip(NEXT) | instid1(VALU_DEP_1)
	v_min_u32_e32 v5, 32, v5
	v_subrev_nc_u32_e32 v16, 29, v5
	s_delay_alu instid0(VALU_DEP_1) | instskip(NEXT) | instid1(VALU_DEP_1)
	v_lshlrev_b64_e32 v[16:17], v16, v[2:3]
	v_dual_sub_nc_u32 v5, 30, v5 :: v_dual_bitop2_b32 v16, 3, v16 bitop3:0x40
; %bb.771:                              ;   in Loop: Header=BB2_380 Depth=3
	s_or_b32 exec_lo, exec_lo, s23
	v_and_b32_e32 v2, 0x80000000, v4
	s_delay_alu instid0(VALU_DEP_1) | instskip(NEXT) | instid1(VALU_DEP_1)
	v_lshl_add_u32 v2, v5, 23, v2
                                        ; implicit-def: $vgpr4_vgpr5
	v_lshl_or_b32 v2, v16, 21, v2
                                        ; implicit-def: $vgpr16
	s_delay_alu instid0(VALU_DEP_1)
	v_add_nc_u32_e32 v17, 0x38000000, v2
.LBB2_772:                              ;   in Loop: Header=BB2_380 Depth=3
	s_and_not1_saveexec_b32 s22, s22
; %bb.773:                              ;   in Loop: Header=BB2_380 Depth=3
	v_cmp_lt_i32_e32 vcc_lo, -1, v4
	v_cndmask_b32_e32 v2, 0xff800000, v21, vcc_lo
	v_cmp_eq_u32_e32 vcc_lo, 0, v16
	s_delay_alu instid0(VALU_DEP_2)
	v_cndmask_b32_e32 v17, 0x7f800001, v2, vcc_lo
; %bb.774:                              ;   in Loop: Header=BB2_380 Depth=3
	s_or_b32 exec_lo, exec_lo, s22
.LBB2_775:                              ;   in Loop: Header=BB2_380 Depth=3
	s_delay_alu instid0(SALU_CYCLE_1)
	s_or_b32 exec_lo, exec_lo, s21
.LBB2_776:                              ;   in Loop: Header=BB2_380 Depth=3
	s_delay_alu instid0(SALU_CYCLE_1) | instskip(NEXT) | instid1(VALU_DEP_1)
	s_or_b32 exec_lo, exec_lo, s8
	v_dual_add_f32 v16, v44, v17 :: v_dual_mov_b32 v45, v65
	v_mov_b32_e32 v5, v65
                                        ; implicit-def: $vgpr47
	s_mov_b32 s8, exec_lo
	s_delay_alu instid0(VALU_DEP_2) | instskip(SKIP_2) | instid1(VALU_DEP_3)
	v_and_b32_e32 v44, 0x7f800000, v16
	v_and_b32_e32 v4, 0x7fffff, v16
	v_lshrrev_b32_e32 v2, 24, v16
	v_cmpx_ne_u64_e32 0x7f800000, v[44:45]
	s_xor_b32 s21, exec_lo, s8
	s_cbranch_execz .LBB2_790
; %bb.777:                              ;   in Loop: Header=BB2_380 Depth=3
	v_and_b32_e32 v44, 0x7fffffff, v16
	v_mov_b32_e32 v45, v65
	v_and_b32_e32 v2, 0x80, v2
                                        ; implicit-def: $vgpr47
	s_mov_b32 s8, exec_lo
	s_delay_alu instid0(VALU_DEP_2)
	v_cmpx_gt_u64_e32 0x47600001, v[44:45]
	s_xor_b32 s22, exec_lo, s8
	s_cbranch_execz .LBB2_787
; %bb.778:                              ;   in Loop: Header=BB2_380 Depth=3
	v_mov_b32_e32 v47, 0
	s_mov_b32 s23, exec_lo
	v_cmpx_ne_u32_e32 0, v16
	s_cbranch_execz .LBB2_786
; %bb.779:                              ;   in Loop: Header=BB2_380 Depth=3
	v_bfe_u32 v44, v16, 23, 8
	v_or_b32_e32 v47, 0x800000, v4
	s_delay_alu instid0(VALU_DEP_2) | instskip(SKIP_1) | instid1(VALU_DEP_2)
	v_sub_nc_u32_e32 v16, 0x71, v44
	v_cmp_gt_u32_e32 vcc_lo, 0x72, v44
	v_cndmask_b32_e32 v16, 0, v16, vcc_lo
	v_cmp_eq_u32_e32 vcc_lo, 0, v44
	s_delay_alu instid0(VALU_DEP_2) | instskip(NEXT) | instid1(VALU_DEP_1)
	v_cndmask_b32_e64 v45, v16, 0x70, vcc_lo
	v_dual_cndmask_b32 v4, v47, v4, vcc_lo :: v_dual_add_nc_u32 v16, 21, v45
	v_add_nc_u32_e32 v79, 20, v45
	s_delay_alu instid0(VALU_DEP_2) | instskip(NEXT) | instid1(VALU_DEP_2)
	v_lshlrev_b64_e64 v[16:17], v16, -1
	v_lshlrev_b64_e64 v[88:89], v79, 1
	s_delay_alu instid0(VALU_DEP_2) | instskip(SKIP_1) | instid1(VALU_DEP_4)
	v_bfi_b32 v16, v16, 0, v4
	v_lshrrev_b64 v[4:5], v45, v[4:5]
	v_bfi_b32 v17, v17, 0, 0
	s_delay_alu instid0(VALU_DEP_1) | instskip(NEXT) | instid1(VALU_DEP_3)
	v_cmp_eq_u64_e64 s8, v[16:17], v[88:89]
	v_mov_b64_e32 v[16:17], v[4:5]
	s_and_saveexec_b32 s24, s8
; %bb.780:                              ;   in Loop: Header=BB2_380 Depth=3
	v_bfe_u32 v16, v4, 21, 1
	v_mov_b32_e32 v17, v65
	s_delay_alu instid0(VALU_DEP_1) | instskip(NEXT) | instid1(VALU_DEP_1)
	v_add_nc_u64_e32 v[16:17], v[4:5], v[16:17]
	v_add_nc_u64_e32 v[16:17], -1, v[16:17]
; %bb.781:                              ;   in Loop: Header=BB2_380 Depth=3
	s_or_b32 exec_lo, exec_lo, s24
	v_add_nc_u32_e32 v5, 0xffffff81, v44
	v_lshrrev_b32_e32 v17, 23, v4
	s_mov_b32 s8, exec_lo
	s_delay_alu instid0(VALU_DEP_2) | instskip(NEXT) | instid1(VALU_DEP_1)
	v_cndmask_b32_e64 v5, v5, 0xffffff82, vcc_lo
	v_add3_u32 v17, v45, v5, v17
	v_and_b32_e32 v5, 0x1fffff, v16
                                        ; implicit-def: $vgpr16
	s_delay_alu instid0(VALU_DEP_1) | instskip(SKIP_1) | instid1(VALU_DEP_2)
	v_dual_add_nc_u32 v44, 14, v17 :: v_dual_add_nc_u32 v4, v5, v4
	v_mov_b32_e32 v5, v65
	v_cmpx_ne_u32_e32 0, v44
	s_xor_b32 s8, exec_lo, s8
; %bb.782:                              ;   in Loop: Header=BB2_380 Depth=3
	s_delay_alu instid0(VALU_DEP_2) | instskip(SKIP_2) | instid1(VALU_DEP_2)
	v_cmp_lt_u64_e32 vcc_lo, 0xffffff, v[4:5]
	v_add_nc_u32_e32 v16, 15, v17
	v_cndmask_b32_e64 v17, 0, 1, vcc_lo
	v_cndmask_b32_e32 v16, v44, v16, vcc_lo
	s_delay_alu instid0(VALU_DEP_2)
	v_lshrrev_b64 v[4:5], v17, v[4:5]
; %bb.783:                              ;   in Loop: Header=BB2_380 Depth=3
	s_and_not1_saveexec_b32 s8, s8
; %bb.784:                              ;   in Loop: Header=BB2_380 Depth=3
	s_delay_alu instid0(VALU_DEP_1)
	v_bfe_u32 v16, v4, 23, 1
; %bb.785:                              ;   in Loop: Header=BB2_380 Depth=3
	s_or_b32 exec_lo, exec_lo, s8
	s_delay_alu instid0(VALU_DEP_2) | instskip(NEXT) | instid1(VALU_DEP_2)
	v_lshrrev_b64 v[4:5], 21, v[4:5]
	v_cmp_gt_i32_e32 vcc_lo, 32, v16
	v_min_i32_e32 v17, 31, v16
	v_cmp_eq_u32_e64 s8, 0, v16
	s_delay_alu instid0(VALU_DEP_4) | instskip(NEXT) | instid1(VALU_DEP_3)
	v_cndmask_b32_e32 v5, 0, v5, vcc_lo
	v_dual_cndmask_b32 v4, 3, v4 :: v_dual_lshlrev_b32 v17, 2, v17
	s_delay_alu instid0(VALU_DEP_1) | instskip(NEXT) | instid1(VALU_DEP_2)
	v_and_b32_e32 v17, 0xfc, v17
	v_cmp_eq_u64_e32 vcc_lo, 0, v[4:5]
	s_delay_alu instid0(VALU_DEP_2)
	v_and_or_b32 v4, v4, 3, v17
	s_and_b32 s8, s8, vcc_lo
	s_delay_alu instid0(VALU_DEP_1) | instid1(SALU_CYCLE_1)
	v_cndmask_b32_e64 v4, v4, 0, s8
	s_delay_alu instid0(VALU_DEP_1)
	v_or_b32_e32 v47, v4, v2
.LBB2_786:                              ;   in Loop: Header=BB2_380 Depth=3
	s_or_b32 exec_lo, exec_lo, s23
                                        ; implicit-def: $vgpr2
.LBB2_787:                              ;   in Loop: Header=BB2_380 Depth=3
	s_and_not1_saveexec_b32 s8, s22
; %bb.788:                              ;   in Loop: Header=BB2_380 Depth=3
	v_or_b32_e32 v47, 0x7b, v2
; %bb.789:                              ;   in Loop: Header=BB2_380 Depth=3
	s_or_b32 exec_lo, exec_lo, s8
                                        ; implicit-def: $vgpr16
                                        ; implicit-def: $vgpr4_vgpr5
                                        ; implicit-def: $vgpr2
.LBB2_790:                              ;   in Loop: Header=BB2_380 Depth=3
	s_and_not1_saveexec_b32 s8, s21
	s_cbranch_execz .LBB2_796
; %bb.791:                              ;   in Loop: Header=BB2_380 Depth=3
	s_mov_b32 s21, exec_lo
                                        ; implicit-def: $vgpr47
	v_cmpx_ne_u64_e32 0, v[4:5]
	s_xor_b32 s21, exec_lo, s21
; %bb.792:                              ;   in Loop: Header=BB2_380 Depth=3
	v_or_b32_e32 v47, 0x7f, v2
                                        ; implicit-def: $vgpr16
; %bb.793:                              ;   in Loop: Header=BB2_380 Depth=3
	s_and_not1_saveexec_b32 s21, s21
; %bb.794:                              ;   in Loop: Header=BB2_380 Depth=3
	v_cmp_lt_i32_e32 vcc_lo, -1, v16
	v_cndmask_b32_e32 v47, 0xfc, v59, vcc_lo
; %bb.795:                              ;   in Loop: Header=BB2_380 Depth=3
	s_or_b32 exec_lo, exec_lo, s21
.LBB2_796:                              ;   in Loop: Header=BB2_380 Depth=3
	s_delay_alu instid0(SALU_CYCLE_1) | instskip(SKIP_3) | instid1(VALU_DEP_2)
	s_or_b32 exec_lo, exec_lo, s8
	v_and_b32_e32 v2, 0xff, v18
	v_dual_mov_b32 v16, 0 :: v_dual_mov_b32 v17, 0
	s_mov_b32 s8, exec_lo
	v_cmpx_ne_u16_e32 0, v2
	s_cbranch_execz .LBB2_806
; %bb.797:                              ;   in Loop: Header=BB2_380 Depth=3
	v_bfe_i32 v4, v18, 0, 8
	v_bfrev_b32_e32 v17, 1
	s_mov_b32 s21, exec_lo
	s_delay_alu instid0(VALU_DEP_2)
	v_cmpx_ne_u16_e32 0xff80, v4
	s_cbranch_execz .LBB2_805
; %bb.798:                              ;   in Loop: Header=BB2_380 Depth=3
	v_and_b32_e32 v5, 0x7c, v18
	v_and_b32_e32 v2, 3, v18
	s_mov_b32 s22, exec_lo
                                        ; implicit-def: $vgpr17
	s_delay_alu instid0(VALU_DEP_2)
	v_cmpx_ne_u32_e32 0x7c, v5
	s_xor_b32 s22, exec_lo, s22
	s_cbranch_execz .LBB2_802
; %bb.799:                              ;   in Loop: Header=BB2_380 Depth=3
	v_bfe_u32 v4, v18, 2, 5
	s_mov_b32 s23, exec_lo
	s_delay_alu instid0(VALU_DEP_1)
	v_cmpx_eq_u32_e32 0, v4
; %bb.800:                              ;   in Loop: Header=BB2_380 Depth=3
	v_clz_i32_u32_e32 v2, v2
	s_delay_alu instid0(VALU_DEP_1) | instskip(NEXT) | instid1(VALU_DEP_1)
	v_min_u32_e32 v2, 32, v2
	v_subrev_nc_u32_e32 v4, 29, v2
	s_delay_alu instid0(VALU_DEP_1) | instskip(NEXT) | instid1(VALU_DEP_1)
	v_lshlrev_b64_e32 v[44:45], v4, v[18:19]
	v_dual_sub_nc_u32 v4, 30, v2 :: v_dual_bitop2_b32 v2, 3, v44 bitop3:0x40
; %bb.801:                              ;   in Loop: Header=BB2_380 Depth=3
	s_or_b32 exec_lo, exec_lo, s23
	v_lshlrev_b32_e32 v5, 24, v18
	s_delay_alu instid0(VALU_DEP_1) | instskip(NEXT) | instid1(VALU_DEP_1)
	v_and_b32_e32 v5, 0x80000000, v5
	v_lshl_add_u32 v4, v4, 23, v5
	s_delay_alu instid0(VALU_DEP_1) | instskip(NEXT) | instid1(VALU_DEP_1)
	v_lshl_or_b32 v2, v2, 21, v4
                                        ; implicit-def: $vgpr4
	v_add_nc_u32_e32 v17, 0x38000000, v2
                                        ; implicit-def: $vgpr2
.LBB2_802:                              ;   in Loop: Header=BB2_380 Depth=3
	s_and_not1_saveexec_b32 s22, s22
; %bb.803:                              ;   in Loop: Header=BB2_380 Depth=3
	v_cmp_lt_i16_e32 vcc_lo, -1, v4
	v_cndmask_b32_e32 v4, 0xff800000, v21, vcc_lo
	v_cmp_eq_u32_e32 vcc_lo, 0, v2
	s_delay_alu instid0(VALU_DEP_2)
	v_cndmask_b32_e32 v17, 0x7f800001, v4, vcc_lo
; %bb.804:                              ;   in Loop: Header=BB2_380 Depth=3
	s_or_b32 exec_lo, exec_lo, s22
.LBB2_805:                              ;   in Loop: Header=BB2_380 Depth=3
	s_delay_alu instid0(SALU_CYCLE_1)
	s_or_b32 exec_lo, exec_lo, s21
.LBB2_806:                              ;   in Loop: Header=BB2_380 Depth=3
	s_delay_alu instid0(SALU_CYCLE_1) | instskip(SKIP_4) | instid1(VALU_DEP_2)
	s_or_b32 exec_lo, exec_lo, s8
	v_dual_lshlrev_b32 v4, 24, v78 :: v_dual_lshlrev_b32 v19, 16, v77
	v_lshl_or_b32 v2, v76, 8, v74
	v_mov_b32_e32 v5, v65
	s_mov_b32 s8, exec_lo
	v_or3_b32 v4, v19, v4, v2
	v_cmpx_ne_u32_e32 0, v74
	s_cbranch_execz .LBB2_816
; %bb.807:                              ;   in Loop: Header=BB2_380 Depth=3
	v_bfrev_b32_e32 v16, 1
	s_mov_b32 s21, exec_lo
	v_cmpx_ne_u32_e32 0x80, v74
	s_cbranch_execz .LBB2_815
; %bb.808:                              ;   in Loop: Header=BB2_380 Depth=3
	v_and_b32_e32 v16, 0x7c, v74
	v_and_b32_e32 v19, 3, v74
	s_delay_alu instid0(VALU_DEP_2) | instskip(SKIP_1) | instid1(SALU_CYCLE_1)
	v_cmp_ne_u32_e32 vcc_lo, 0x7c, v16
                                        ; implicit-def: $vgpr16
	s_and_saveexec_b32 s22, vcc_lo
	s_xor_b32 s22, exec_lo, s22
	s_cbranch_execz .LBB2_812
; %bb.809:                              ;   in Loop: Header=BB2_380 Depth=3
	v_bfe_u32 v16, v74, 2, 5
	s_mov_b32 s23, exec_lo
	s_delay_alu instid0(VALU_DEP_1)
	v_cmpx_eq_u32_e32 0, v16
; %bb.810:                              ;   in Loop: Header=BB2_380 Depth=3
	v_clz_i32_u32_e32 v16, v19
	s_delay_alu instid0(VALU_DEP_1) | instskip(NEXT) | instid1(VALU_DEP_1)
	v_min_u32_e32 v16, 32, v16
	v_subrev_nc_u32_e32 v19, 29, v16
	v_sub_nc_u32_e32 v16, 30, v16
	s_delay_alu instid0(VALU_DEP_2) | instskip(NEXT) | instid1(VALU_DEP_1)
	v_lshlrev_b64_e32 v[44:45], v19, v[4:5]
	v_and_b32_e32 v19, 3, v44
; %bb.811:                              ;   in Loop: Header=BB2_380 Depth=3
	s_or_b32 exec_lo, exec_lo, s23
	v_lshlrev_b32_e32 v5, 24, v74
                                        ; implicit-def: $vgpr74
	s_delay_alu instid0(VALU_DEP_1) | instskip(NEXT) | instid1(VALU_DEP_1)
	v_and_b32_e32 v5, 0x80000000, v5
	v_lshl_add_u32 v5, v16, 23, v5
	s_delay_alu instid0(VALU_DEP_1) | instskip(NEXT) | instid1(VALU_DEP_1)
	v_lshl_or_b32 v5, v19, 21, v5
                                        ; implicit-def: $vgpr19
	v_add_nc_u32_e32 v16, 0x38000000, v5
.LBB2_812:                              ;   in Loop: Header=BB2_380 Depth=3
	s_and_not1_saveexec_b32 s22, s22
; %bb.813:                              ;   in Loop: Header=BB2_380 Depth=3
	v_and_b32_e32 v5, 0x80, v74
	s_delay_alu instid0(VALU_DEP_1) | instskip(SKIP_2) | instid1(VALU_DEP_2)
	v_cmp_eq_u32_e32 vcc_lo, 0, v5
	v_cndmask_b32_e32 v5, 0xff800000, v21, vcc_lo
	v_cmp_eq_u32_e32 vcc_lo, 0, v19
	v_cndmask_b32_e32 v16, 0x7f800001, v5, vcc_lo
; %bb.814:                              ;   in Loop: Header=BB2_380 Depth=3
	s_or_b32 exec_lo, exec_lo, s22
.LBB2_815:                              ;   in Loop: Header=BB2_380 Depth=3
	s_delay_alu instid0(SALU_CYCLE_1)
	s_or_b32 exec_lo, exec_lo, s21
.LBB2_816:                              ;   in Loop: Header=BB2_380 Depth=3
	s_delay_alu instid0(SALU_CYCLE_1) | instskip(NEXT) | instid1(VALU_DEP_1)
	s_or_b32 exec_lo, exec_lo, s8
	v_add_f32_e32 v44, v17, v16
	v_dual_mov_b32 v77, v65 :: v_dual_mov_b32 v17, v65
                                        ; implicit-def: $vgpr19
	s_mov_b32 s8, exec_lo
	s_delay_alu instid0(VALU_DEP_2) | instskip(SKIP_2) | instid1(VALU_DEP_3)
	v_and_b32_e32 v76, 0x7f800000, v44
	v_and_b32_e32 v16, 0x7fffff, v44
	v_lshrrev_b32_e32 v5, 24, v44
	v_cmpx_ne_u64_e32 0x7f800000, v[76:77]
	s_xor_b32 s21, exec_lo, s8
	s_cbranch_execz .LBB2_830
; %bb.817:                              ;   in Loop: Header=BB2_380 Depth=3
	v_and_b32_e32 v76, 0x7fffffff, v44
	v_mov_b32_e32 v77, v65
	v_and_b32_e32 v5, 0x80, v5
                                        ; implicit-def: $vgpr19
	s_mov_b32 s8, exec_lo
	s_delay_alu instid0(VALU_DEP_2)
	v_cmpx_gt_u64_e32 0x47600001, v[76:77]
	s_xor_b32 s22, exec_lo, s8
	s_cbranch_execz .LBB2_827
; %bb.818:                              ;   in Loop: Header=BB2_380 Depth=3
	v_mov_b32_e32 v19, 0
	s_mov_b32 s23, exec_lo
	v_cmpx_ne_u32_e32 0, v44
	s_cbranch_execz .LBB2_826
; %bb.819:                              ;   in Loop: Header=BB2_380 Depth=3
	v_bfe_u32 v19, v44, 23, 8
	v_or_b32_e32 v76, 0x800000, v16
	s_delay_alu instid0(VALU_DEP_2) | instskip(SKIP_1) | instid1(VALU_DEP_2)
	v_sub_nc_u32_e32 v44, 0x71, v19
	v_cmp_gt_u32_e32 vcc_lo, 0x72, v19
	v_cndmask_b32_e32 v44, 0, v44, vcc_lo
	v_cmp_eq_u32_e32 vcc_lo, 0, v19
	s_delay_alu instid0(VALU_DEP_2) | instskip(NEXT) | instid1(VALU_DEP_1)
	v_cndmask_b32_e64 v74, v44, 0x70, vcc_lo
	v_dual_cndmask_b32 v16, v76, v16, vcc_lo :: v_dual_add_nc_u32 v44, 21, v74
	v_add_nc_u32_e32 v77, 20, v74
	s_delay_alu instid0(VALU_DEP_2) | instskip(NEXT) | instid1(VALU_DEP_2)
	v_lshlrev_b64_e64 v[44:45], v44, -1
	v_lshlrev_b64_e64 v[76:77], v77, 1
	s_delay_alu instid0(VALU_DEP_2) | instskip(SKIP_1) | instid1(VALU_DEP_4)
	v_bfi_b32 v44, v44, 0, v16
	v_lshrrev_b64 v[16:17], v74, v[16:17]
	v_bfi_b32 v45, v45, 0, 0
	s_delay_alu instid0(VALU_DEP_1) | instskip(NEXT) | instid1(VALU_DEP_3)
	v_cmp_eq_u64_e64 s8, v[44:45], v[76:77]
	v_mov_b64_e32 v[44:45], v[16:17]
	s_and_saveexec_b32 s24, s8
; %bb.820:                              ;   in Loop: Header=BB2_380 Depth=3
	v_bfe_u32 v44, v16, 21, 1
	v_mov_b32_e32 v45, v65
	s_delay_alu instid0(VALU_DEP_1) | instskip(NEXT) | instid1(VALU_DEP_1)
	v_add_nc_u64_e32 v[44:45], v[16:17], v[44:45]
	v_add_nc_u64_e32 v[44:45], -1, v[44:45]
; %bb.821:                              ;   in Loop: Header=BB2_380 Depth=3
	s_or_b32 exec_lo, exec_lo, s24
	v_add_nc_u32_e32 v17, 0xffffff81, v19
	v_lshrrev_b32_e32 v19, 23, v16
	s_mov_b32 s8, exec_lo
	s_delay_alu instid0(VALU_DEP_2) | instskip(NEXT) | instid1(VALU_DEP_1)
	v_cndmask_b32_e64 v17, v17, 0xffffff82, vcc_lo
	v_add3_u32 v45, v74, v17, v19
	v_and_b32_e32 v17, 0x1fffff, v44
                                        ; implicit-def: $vgpr19
	s_delay_alu instid0(VALU_DEP_1) | instskip(SKIP_1) | instid1(VALU_DEP_2)
	v_dual_add_nc_u32 v44, 14, v45 :: v_dual_add_nc_u32 v16, v17, v16
	v_mov_b32_e32 v17, v65
	v_cmpx_ne_u32_e32 0, v44
	s_xor_b32 s8, exec_lo, s8
; %bb.822:                              ;   in Loop: Header=BB2_380 Depth=3
	s_delay_alu instid0(VALU_DEP_2) | instskip(SKIP_1) | instid1(VALU_DEP_1)
	v_cmp_lt_u64_e32 vcc_lo, 0xffffff, v[16:17]
	v_add_nc_u32_e32 v19, 15, v45
	v_cndmask_b32_e32 v19, v44, v19, vcc_lo
	v_cndmask_b32_e64 v44, 0, 1, vcc_lo
	s_delay_alu instid0(VALU_DEP_1)
	v_lshrrev_b64 v[16:17], v44, v[16:17]
; %bb.823:                              ;   in Loop: Header=BB2_380 Depth=3
	s_and_not1_saveexec_b32 s8, s8
; %bb.824:                              ;   in Loop: Header=BB2_380 Depth=3
	s_delay_alu instid0(VALU_DEP_1)
	v_bfe_u32 v19, v16, 23, 1
; %bb.825:                              ;   in Loop: Header=BB2_380 Depth=3
	s_or_b32 exec_lo, exec_lo, s8
	s_delay_alu instid0(VALU_DEP_2) | instskip(NEXT) | instid1(VALU_DEP_2)
	v_lshrrev_b64 v[16:17], 21, v[16:17]
	v_cmp_gt_i32_e32 vcc_lo, 32, v19
	v_min_i32_e32 v44, 31, v19
	v_cmp_eq_u32_e64 s8, 0, v19
	s_delay_alu instid0(VALU_DEP_2) | instskip(SKIP_1) | instid1(VALU_DEP_2)
	v_dual_cndmask_b32 v17, 0, v17 :: v_dual_lshlrev_b32 v44, 2, v44
	v_cndmask_b32_e32 v16, 3, v16, vcc_lo
	v_and_b32_e32 v44, 0xfc, v44
	s_delay_alu instid0(VALU_DEP_2) | instskip(NEXT) | instid1(VALU_DEP_2)
	v_cmp_eq_u64_e32 vcc_lo, 0, v[16:17]
	v_and_or_b32 v16, v16, 3, v44
	s_and_b32 s8, s8, vcc_lo
	s_delay_alu instid0(VALU_DEP_1) | instid1(SALU_CYCLE_1)
	v_cndmask_b32_e64 v16, v16, 0, s8
	s_delay_alu instid0(VALU_DEP_1)
	v_or_b32_e32 v19, v16, v5
.LBB2_826:                              ;   in Loop: Header=BB2_380 Depth=3
	s_or_b32 exec_lo, exec_lo, s23
                                        ; implicit-def: $vgpr5
.LBB2_827:                              ;   in Loop: Header=BB2_380 Depth=3
	s_and_not1_saveexec_b32 s8, s22
; %bb.828:                              ;   in Loop: Header=BB2_380 Depth=3
	v_or_b32_e32 v19, 0x7b, v5
; %bb.829:                              ;   in Loop: Header=BB2_380 Depth=3
	s_or_b32 exec_lo, exec_lo, s8
                                        ; implicit-def: $vgpr44
                                        ; implicit-def: $vgpr16_vgpr17
                                        ; implicit-def: $vgpr5
.LBB2_830:                              ;   in Loop: Header=BB2_380 Depth=3
	s_and_not1_saveexec_b32 s8, s21
	s_cbranch_execz .LBB2_836
; %bb.831:                              ;   in Loop: Header=BB2_380 Depth=3
	s_mov_b32 s21, exec_lo
                                        ; implicit-def: $vgpr19
	v_cmpx_ne_u64_e32 0, v[16:17]
	s_xor_b32 s21, exec_lo, s21
; %bb.832:                              ;   in Loop: Header=BB2_380 Depth=3
	v_or_b32_e32 v19, 0x7f, v5
                                        ; implicit-def: $vgpr44
; %bb.833:                              ;   in Loop: Header=BB2_380 Depth=3
	s_and_not1_saveexec_b32 s21, s21
; %bb.834:                              ;   in Loop: Header=BB2_380 Depth=3
	v_cmp_lt_i32_e32 vcc_lo, -1, v44
	v_cndmask_b32_e32 v19, 0xfc, v59, vcc_lo
; %bb.835:                              ;   in Loop: Header=BB2_380 Depth=3
	s_or_b32 exec_lo, exec_lo, s21
.LBB2_836:                              ;   in Loop: Header=BB2_380 Depth=3
	s_delay_alu instid0(SALU_CYCLE_1) | instskip(SKIP_3) | instid1(VALU_DEP_2)
	s_or_b32 exec_lo, exec_lo, s8
	v_lshrrev_b16 v16, 8, v18
	v_dual_mov_b32 v5, 0 :: v_dual_mov_b32 v44, 0
	s_mov_b32 s8, exec_lo
	v_cmpx_ne_u16_e32 0, v16
	s_cbranch_execz .LBB2_846
; %bb.837:                              ;   in Loop: Header=BB2_380 Depth=3
	v_bfrev_b32_e32 v44, 1
	s_mov_b32 s21, exec_lo
	v_cmpx_ne_u16_e32 0x80, v16
	s_cbranch_execz .LBB2_845
; %bb.838:                              ;   in Loop: Header=BB2_380 Depth=3
	v_and_b32_e32 v45, 0xffff, v16
	s_delay_alu instid0(VALU_DEP_1) | instskip(SKIP_1) | instid1(VALU_DEP_2)
	v_and_b32_e32 v44, 0x7c, v45
	v_and_b32_e32 v17, 3, v45
	v_cmp_ne_u32_e32 vcc_lo, 0x7c, v44
                                        ; implicit-def: $vgpr44
	s_and_saveexec_b32 s22, vcc_lo
	s_delay_alu instid0(SALU_CYCLE_1)
	s_xor_b32 s22, exec_lo, s22
	s_cbranch_execz .LBB2_842
; %bb.839:                              ;   in Loop: Header=BB2_380 Depth=3
	v_bfe_u32 v44, v45, 2, 5
	s_mov_b32 s23, exec_lo
	s_delay_alu instid0(VALU_DEP_1)
	v_cmpx_eq_u32_e32 0, v44
	s_cbranch_execz .LBB2_841
; %bb.840:                              ;   in Loop: Header=BB2_380 Depth=3
	v_clz_i32_u32_e32 v17, v17
	s_delay_alu instid0(VALU_DEP_1) | instskip(SKIP_1) | instid1(VALU_DEP_2)
	v_min_u32_e32 v44, 32, v17
	v_mov_b32_e32 v17, v65
	v_subrev_nc_u32_e32 v45, 29, v44
	v_sub_nc_u32_e32 v44, 30, v44
	s_delay_alu instid0(VALU_DEP_2) | instskip(NEXT) | instid1(VALU_DEP_1)
	v_lshlrev_b64_e32 v[16:17], v45, v[16:17]
	v_and_b32_e32 v17, 3, v16
.LBB2_841:                              ;   in Loop: Header=BB2_380 Depth=3
	s_or_b32 exec_lo, exec_lo, s23
	v_lshlrev_b32_e32 v16, 16, v18
	s_delay_alu instid0(VALU_DEP_1) | instskip(NEXT) | instid1(VALU_DEP_1)
	v_and_b32_e32 v16, 0x80000000, v16
	v_lshl_add_u32 v16, v44, 23, v16
	s_delay_alu instid0(VALU_DEP_1) | instskip(NEXT) | instid1(VALU_DEP_1)
	v_lshl_or_b32 v16, v17, 21, v16
                                        ; implicit-def: $vgpr17
	v_add_nc_u32_e32 v44, 0x38000000, v16
.LBB2_842:                              ;   in Loop: Header=BB2_380 Depth=3
	s_and_not1_saveexec_b32 s22, s22
; %bb.843:                              ;   in Loop: Header=BB2_380 Depth=3
	v_cmp_lt_i16_e32 vcc_lo, -1, v18
	v_cndmask_b32_e32 v16, 0xff800000, v21, vcc_lo
	v_cmp_eq_u32_e32 vcc_lo, 0, v17
	s_delay_alu instid0(VALU_DEP_2)
	v_cndmask_b32_e32 v44, 0x7f800001, v16, vcc_lo
; %bb.844:                              ;   in Loop: Header=BB2_380 Depth=3
	s_or_b32 exec_lo, exec_lo, s22
.LBB2_845:                              ;   in Loop: Header=BB2_380 Depth=3
	s_delay_alu instid0(SALU_CYCLE_1)
	s_or_b32 exec_lo, exec_lo, s21
.LBB2_846:                              ;   in Loop: Header=BB2_380 Depth=3
	s_delay_alu instid0(SALU_CYCLE_1) | instskip(SKIP_2) | instid1(VALU_DEP_1)
	s_or_b32 exec_lo, exec_lo, s8
	v_lshrrev_b16 v16, 8, v2
	s_mov_b32 s8, exec_lo
	v_cmpx_ne_u16_e32 0, v16
	s_cbranch_execz .LBB2_856
; %bb.847:                              ;   in Loop: Header=BB2_380 Depth=3
	v_bfrev_b32_e32 v5, 1
	s_mov_b32 s21, exec_lo
	v_cmpx_ne_u16_e32 0x80, v16
	s_cbranch_execz .LBB2_855
; %bb.848:                              ;   in Loop: Header=BB2_380 Depth=3
	v_and_b32_e32 v45, 0xffff, v16
	s_delay_alu instid0(VALU_DEP_1) | instskip(SKIP_1) | instid1(VALU_DEP_2)
	v_and_b32_e32 v5, 0x7c, v45
	v_and_b32_e32 v17, 3, v45
	v_cmp_ne_u32_e32 vcc_lo, 0x7c, v5
                                        ; implicit-def: $vgpr5
	s_and_saveexec_b32 s22, vcc_lo
	s_delay_alu instid0(SALU_CYCLE_1)
	s_xor_b32 s22, exec_lo, s22
	s_cbranch_execz .LBB2_852
; %bb.849:                              ;   in Loop: Header=BB2_380 Depth=3
	v_bfe_u32 v5, v45, 2, 5
	s_mov_b32 s23, exec_lo
	s_delay_alu instid0(VALU_DEP_1)
	v_cmpx_eq_u32_e32 0, v5
	s_cbranch_execz .LBB2_851
; %bb.850:                              ;   in Loop: Header=BB2_380 Depth=3
	v_clz_i32_u32_e32 v5, v17
	s_delay_alu instid0(VALU_DEP_1) | instskip(SKIP_1) | instid1(VALU_DEP_2)
	v_min_u32_e32 v5, 32, v5
	v_mov_b32_e32 v17, v65
	v_subrev_nc_u32_e32 v45, 29, v5
	v_sub_nc_u32_e32 v5, 30, v5
	s_delay_alu instid0(VALU_DEP_2) | instskip(NEXT) | instid1(VALU_DEP_1)
	v_lshlrev_b64_e32 v[16:17], v45, v[16:17]
	v_and_b32_e32 v17, 3, v16
.LBB2_851:                              ;   in Loop: Header=BB2_380 Depth=3
	s_or_b32 exec_lo, exec_lo, s23
	v_lshlrev_b32_e32 v2, 16, v2
	s_delay_alu instid0(VALU_DEP_1) | instskip(NEXT) | instid1(VALU_DEP_1)
	v_and_b32_e32 v2, 0x80000000, v2
	v_lshl_add_u32 v2, v5, 23, v2
	s_delay_alu instid0(VALU_DEP_1) | instskip(NEXT) | instid1(VALU_DEP_1)
	v_lshl_or_b32 v2, v17, 21, v2
                                        ; implicit-def: $vgpr17
	v_add_nc_u32_e32 v5, 0x38000000, v2
                                        ; implicit-def: $vgpr2
.LBB2_852:                              ;   in Loop: Header=BB2_380 Depth=3
	s_and_not1_saveexec_b32 s22, s22
; %bb.853:                              ;   in Loop: Header=BB2_380 Depth=3
	v_cmp_lt_i16_e32 vcc_lo, -1, v2
	v_cndmask_b32_e32 v2, 0xff800000, v21, vcc_lo
	v_cmp_eq_u32_e32 vcc_lo, 0, v17
	s_delay_alu instid0(VALU_DEP_2)
	v_cndmask_b32_e32 v5, 0x7f800001, v2, vcc_lo
; %bb.854:                              ;   in Loop: Header=BB2_380 Depth=3
	s_or_b32 exec_lo, exec_lo, s22
.LBB2_855:                              ;   in Loop: Header=BB2_380 Depth=3
	s_delay_alu instid0(SALU_CYCLE_1)
	s_or_b32 exec_lo, exec_lo, s21
.LBB2_856:                              ;   in Loop: Header=BB2_380 Depth=3
	s_delay_alu instid0(SALU_CYCLE_1) | instskip(NEXT) | instid1(VALU_DEP_1)
	s_or_b32 exec_lo, exec_lo, s8
	v_dual_add_f32 v5, v44, v5 :: v_dual_mov_b32 v45, v65
	v_mov_b32_e32 v17, v65
                                        ; implicit-def: $vgpr74
	s_mov_b32 s8, exec_lo
	s_delay_alu instid0(VALU_DEP_2) | instskip(SKIP_2) | instid1(VALU_DEP_3)
	v_and_b32_e32 v44, 0x7f800000, v5
	v_and_b32_e32 v16, 0x7fffff, v5
	v_lshrrev_b32_e32 v2, 24, v5
	v_cmpx_ne_u64_e32 0x7f800000, v[44:45]
	s_xor_b32 s21, exec_lo, s8
	s_cbranch_execz .LBB2_870
; %bb.857:                              ;   in Loop: Header=BB2_380 Depth=3
	v_and_b32_e32 v44, 0x7fffffff, v5
	v_mov_b32_e32 v45, v65
	v_and_b32_e32 v2, 0x80, v2
                                        ; implicit-def: $vgpr74
	s_mov_b32 s8, exec_lo
	s_delay_alu instid0(VALU_DEP_2)
	v_cmpx_gt_u64_e32 0x47600001, v[44:45]
	s_xor_b32 s22, exec_lo, s8
	s_cbranch_execz .LBB2_867
; %bb.858:                              ;   in Loop: Header=BB2_380 Depth=3
	v_mov_b32_e32 v74, 0
	s_mov_b32 s23, exec_lo
	v_cmpx_ne_u32_e32 0, v5
	s_cbranch_execz .LBB2_866
; %bb.859:                              ;   in Loop: Header=BB2_380 Depth=3
	v_bfe_u32 v5, v5, 23, 8
	v_or_b32_e32 v76, 0x800000, v16
	s_delay_alu instid0(VALU_DEP_2) | instskip(SKIP_1) | instid1(VALU_DEP_2)
	v_sub_nc_u32_e32 v44, 0x71, v5
	v_cmp_gt_u32_e32 vcc_lo, 0x72, v5
	v_cndmask_b32_e32 v44, 0, v44, vcc_lo
	v_cmp_eq_u32_e32 vcc_lo, 0, v5
	s_delay_alu instid0(VALU_DEP_2) | instskip(NEXT) | instid1(VALU_DEP_1)
	v_cndmask_b32_e64 v74, v44, 0x70, vcc_lo
	v_dual_cndmask_b32 v16, v76, v16, vcc_lo :: v_dual_add_nc_u32 v44, 21, v74
	v_add_nc_u32_e32 v77, 20, v74
	s_delay_alu instid0(VALU_DEP_2) | instskip(NEXT) | instid1(VALU_DEP_2)
	v_lshlrev_b64_e64 v[44:45], v44, -1
	v_lshlrev_b64_e64 v[76:77], v77, 1
	s_delay_alu instid0(VALU_DEP_2) | instskip(SKIP_1) | instid1(VALU_DEP_4)
	v_bfi_b32 v44, v44, 0, v16
	v_lshrrev_b64 v[16:17], v74, v[16:17]
	v_bfi_b32 v45, v45, 0, 0
	s_delay_alu instid0(VALU_DEP_1) | instskip(NEXT) | instid1(VALU_DEP_3)
	v_cmp_eq_u64_e64 s8, v[44:45], v[76:77]
	v_mov_b64_e32 v[44:45], v[16:17]
	s_and_saveexec_b32 s24, s8
; %bb.860:                              ;   in Loop: Header=BB2_380 Depth=3
	v_bfe_u32 v44, v16, 21, 1
	v_mov_b32_e32 v45, v65
	s_delay_alu instid0(VALU_DEP_1) | instskip(NEXT) | instid1(VALU_DEP_1)
	v_add_nc_u64_e32 v[44:45], v[16:17], v[44:45]
	v_add_nc_u64_e32 v[44:45], -1, v[44:45]
; %bb.861:                              ;   in Loop: Header=BB2_380 Depth=3
	s_or_b32 exec_lo, exec_lo, s24
	v_add_nc_u32_e32 v5, 0xffffff81, v5
	v_lshrrev_b32_e32 v17, 23, v16
	s_mov_b32 s8, exec_lo
	s_delay_alu instid0(VALU_DEP_2) | instskip(NEXT) | instid1(VALU_DEP_1)
	v_cndmask_b32_e64 v5, v5, 0xffffff82, vcc_lo
	v_add3_u32 v45, v74, v5, v17
	v_and_b32_e32 v5, 0x1fffff, v44
	s_delay_alu instid0(VALU_DEP_2) | instskip(NEXT) | instid1(VALU_DEP_2)
	v_dual_mov_b32 v17, v65 :: v_dual_add_nc_u32 v44, 14, v45
	v_add_nc_u32_e32 v16, v5, v16
                                        ; implicit-def: $vgpr5
	s_delay_alu instid0(VALU_DEP_2)
	v_cmpx_ne_u32_e32 0, v44
	s_xor_b32 s8, exec_lo, s8
; %bb.862:                              ;   in Loop: Header=BB2_380 Depth=3
	s_delay_alu instid0(VALU_DEP_2) | instskip(SKIP_1) | instid1(VALU_DEP_1)
	v_cmp_lt_u64_e32 vcc_lo, 0xffffff, v[16:17]
	v_add_nc_u32_e32 v5, 15, v45
	v_cndmask_b32_e32 v5, v44, v5, vcc_lo
	v_cndmask_b32_e64 v44, 0, 1, vcc_lo
	s_delay_alu instid0(VALU_DEP_1)
	v_lshrrev_b64 v[16:17], v44, v[16:17]
; %bb.863:                              ;   in Loop: Header=BB2_380 Depth=3
	s_and_not1_saveexec_b32 s8, s8
; %bb.864:                              ;   in Loop: Header=BB2_380 Depth=3
	s_delay_alu instid0(VALU_DEP_1)
	v_bfe_u32 v5, v16, 23, 1
; %bb.865:                              ;   in Loop: Header=BB2_380 Depth=3
	s_or_b32 exec_lo, exec_lo, s8
	s_delay_alu instid0(VALU_DEP_2) | instskip(NEXT) | instid1(VALU_DEP_2)
	v_lshrrev_b64 v[16:17], 21, v[16:17]
	v_cmp_gt_i32_e32 vcc_lo, 32, v5
	v_min_i32_e32 v44, 31, v5
	v_cmp_eq_u32_e64 s8, 0, v5
	s_delay_alu instid0(VALU_DEP_4) | instskip(NEXT) | instid1(VALU_DEP_3)
	v_cndmask_b32_e32 v16, 3, v16, vcc_lo
	v_dual_cndmask_b32 v17, 0, v17 :: v_dual_lshlrev_b32 v44, 2, v44
	s_delay_alu instid0(VALU_DEP_1) | instskip(NEXT) | instid1(VALU_DEP_2)
	v_and_b32_e32 v44, 0xfc, v44
	v_cmp_eq_u64_e32 vcc_lo, 0, v[16:17]
	s_delay_alu instid0(VALU_DEP_2)
	v_and_or_b32 v5, v16, 3, v44
	s_and_b32 s8, s8, vcc_lo
	s_delay_alu instid0(VALU_DEP_1) | instid1(SALU_CYCLE_1)
	v_cndmask_b32_e64 v5, v5, 0, s8
	s_delay_alu instid0(VALU_DEP_1)
	v_or_b32_e32 v74, v5, v2
.LBB2_866:                              ;   in Loop: Header=BB2_380 Depth=3
	s_or_b32 exec_lo, exec_lo, s23
                                        ; implicit-def: $vgpr2
.LBB2_867:                              ;   in Loop: Header=BB2_380 Depth=3
	s_and_not1_saveexec_b32 s8, s22
; %bb.868:                              ;   in Loop: Header=BB2_380 Depth=3
	v_or_b32_e32 v74, 0x7b, v2
; %bb.869:                              ;   in Loop: Header=BB2_380 Depth=3
	s_or_b32 exec_lo, exec_lo, s8
                                        ; implicit-def: $vgpr5
                                        ; implicit-def: $vgpr16_vgpr17
                                        ; implicit-def: $vgpr2
.LBB2_870:                              ;   in Loop: Header=BB2_380 Depth=3
	s_and_not1_saveexec_b32 s8, s21
	s_cbranch_execz .LBB2_876
; %bb.871:                              ;   in Loop: Header=BB2_380 Depth=3
	s_mov_b32 s21, exec_lo
                                        ; implicit-def: $vgpr74
	v_cmpx_ne_u64_e32 0, v[16:17]
	s_xor_b32 s21, exec_lo, s21
; %bb.872:                              ;   in Loop: Header=BB2_380 Depth=3
	v_or_b32_e32 v74, 0x7f, v2
                                        ; implicit-def: $vgpr5
; %bb.873:                              ;   in Loop: Header=BB2_380 Depth=3
	s_and_not1_saveexec_b32 s21, s21
; %bb.874:                              ;   in Loop: Header=BB2_380 Depth=3
	v_cmp_lt_i32_e32 vcc_lo, -1, v5
	v_cndmask_b32_e32 v74, 0xfc, v59, vcc_lo
; %bb.875:                              ;   in Loop: Header=BB2_380 Depth=3
	s_or_b32 exec_lo, exec_lo, s21
.LBB2_876:                              ;   in Loop: Header=BB2_380 Depth=3
	s_delay_alu instid0(SALU_CYCLE_1) | instskip(SKIP_3) | instid1(VALU_DEP_2)
	s_or_b32 exec_lo, exec_lo, s8
	v_dual_mov_b32 v5, 0 :: v_dual_lshrrev_b32 v2, 16, v18
	v_mov_b32_e32 v16, 0
	s_mov_b32 s8, exec_lo
	v_and_b32_e32 v17, 0xff, v2
	s_delay_alu instid0(VALU_DEP_1)
	v_cmpx_ne_u16_e32 0, v17
	s_cbranch_execz .LBB2_886
; %bb.877:                              ;   in Loop: Header=BB2_380 Depth=3
	v_bfrev_b32_e32 v16, 1
	s_mov_b32 s21, exec_lo
	v_cmpx_ne_u16_e32 0x80, v17
	s_cbranch_execz .LBB2_885
; %bb.878:                              ;   in Loop: Header=BB2_380 Depth=3
	v_and_b32_e32 v16, 0x7c0000, v18
	v_bfe_u32 v17, v18, 16, 2
	s_delay_alu instid0(VALU_DEP_2) | instskip(SKIP_1) | instid1(SALU_CYCLE_1)
	v_cmp_ne_u32_e32 vcc_lo, 0x7c0000, v16
                                        ; implicit-def: $vgpr16
	s_and_saveexec_b32 s22, vcc_lo
	s_xor_b32 s22, exec_lo, s22
	s_cbranch_execz .LBB2_882
; %bb.879:                              ;   in Loop: Header=BB2_380 Depth=3
	v_bfe_u32 v16, v18, 18, 5
	s_mov_b32 s23, exec_lo
	s_delay_alu instid0(VALU_DEP_1)
	v_cmpx_eq_u32_e32 0, v16
; %bb.880:                              ;   in Loop: Header=BB2_380 Depth=3
	v_clz_i32_u32_e32 v16, v17
	s_delay_alu instid0(VALU_DEP_1) | instskip(NEXT) | instid1(VALU_DEP_1)
	v_min_u32_e32 v16, 32, v16
	v_subrev_nc_u32_e32 v17, 29, v16
	v_sub_nc_u32_e32 v16, 30, v16
	s_delay_alu instid0(VALU_DEP_2) | instskip(NEXT) | instid1(VALU_DEP_1)
	v_lshlrev_b64_e32 v[44:45], v17, v[2:3]
	v_and_b32_e32 v17, 3, v44
; %bb.881:                              ;   in Loop: Header=BB2_380 Depth=3
	s_or_b32 exec_lo, exec_lo, s23
	v_lshlrev_b32_e32 v2, 24, v2
	s_delay_alu instid0(VALU_DEP_1) | instskip(NEXT) | instid1(VALU_DEP_1)
	v_and_b32_e32 v2, 0x80000000, v2
	v_lshl_add_u32 v2, v16, 23, v2
	s_delay_alu instid0(VALU_DEP_1) | instskip(NEXT) | instid1(VALU_DEP_1)
	v_lshl_or_b32 v2, v17, 21, v2
                                        ; implicit-def: $vgpr17
	v_add_nc_u32_e32 v16, 0x38000000, v2
                                        ; implicit-def: $vgpr2
.LBB2_882:                              ;   in Loop: Header=BB2_380 Depth=3
	s_and_not1_saveexec_b32 s22, s22
; %bb.883:                              ;   in Loop: Header=BB2_380 Depth=3
	v_bfe_i32 v2, v2, 0, 8
	s_delay_alu instid0(VALU_DEP_1) | instskip(SKIP_2) | instid1(VALU_DEP_2)
	v_cmp_lt_i16_e32 vcc_lo, -1, v2
	v_cndmask_b32_e32 v2, 0xff800000, v21, vcc_lo
	v_cmp_eq_u32_e32 vcc_lo, 0, v17
	v_cndmask_b32_e32 v16, 0x7f800001, v2, vcc_lo
; %bb.884:                              ;   in Loop: Header=BB2_380 Depth=3
	s_or_b32 exec_lo, exec_lo, s22
.LBB2_885:                              ;   in Loop: Header=BB2_380 Depth=3
	s_delay_alu instid0(SALU_CYCLE_1)
	s_or_b32 exec_lo, exec_lo, s21
.LBB2_886:                              ;   in Loop: Header=BB2_380 Depth=3
	s_delay_alu instid0(SALU_CYCLE_1) | instskip(SKIP_2) | instid1(VALU_DEP_1)
	s_or_b32 exec_lo, exec_lo, s8
	v_lshrrev_b32_e32 v2, 16, v4
	s_mov_b32 s8, exec_lo
	v_and_b32_e32 v17, 0xff, v2
	s_delay_alu instid0(VALU_DEP_1)
	v_cmpx_ne_u16_e32 0, v17
	s_cbranch_execz .LBB2_896
; %bb.887:                              ;   in Loop: Header=BB2_380 Depth=3
	v_bfrev_b32_e32 v5, 1
	s_mov_b32 s21, exec_lo
	v_cmpx_ne_u16_e32 0x80, v17
	s_cbranch_execz .LBB2_895
; %bb.888:                              ;   in Loop: Header=BB2_380 Depth=3
	v_and_b32_e32 v5, 0x7c0000, v4
	v_bfe_u32 v17, v4, 16, 2
	s_delay_alu instid0(VALU_DEP_2) | instskip(SKIP_1) | instid1(SALU_CYCLE_1)
	v_cmp_ne_u32_e32 vcc_lo, 0x7c0000, v5
                                        ; implicit-def: $vgpr5
	s_and_saveexec_b32 s22, vcc_lo
	s_xor_b32 s22, exec_lo, s22
	s_cbranch_execz .LBB2_892
; %bb.889:                              ;   in Loop: Header=BB2_380 Depth=3
	v_bfe_u32 v5, v4, 18, 5
	s_mov_b32 s23, exec_lo
	s_delay_alu instid0(VALU_DEP_1)
	v_cmpx_eq_u32_e32 0, v5
; %bb.890:                              ;   in Loop: Header=BB2_380 Depth=3
	v_clz_i32_u32_e32 v5, v17
	s_delay_alu instid0(VALU_DEP_1) | instskip(NEXT) | instid1(VALU_DEP_1)
	v_min_u32_e32 v5, 32, v5
	v_subrev_nc_u32_e32 v17, 29, v5
	s_delay_alu instid0(VALU_DEP_1) | instskip(NEXT) | instid1(VALU_DEP_1)
	v_lshlrev_b64_e32 v[44:45], v17, v[2:3]
	v_dual_sub_nc_u32 v5, 30, v5 :: v_dual_bitop2_b32 v17, 3, v44 bitop3:0x40
; %bb.891:                              ;   in Loop: Header=BB2_380 Depth=3
	s_or_b32 exec_lo, exec_lo, s23
	v_lshlrev_b32_e32 v2, 24, v2
	s_delay_alu instid0(VALU_DEP_1) | instskip(NEXT) | instid1(VALU_DEP_1)
	v_and_b32_e32 v2, 0x80000000, v2
	v_lshl_add_u32 v2, v5, 23, v2
	s_delay_alu instid0(VALU_DEP_1) | instskip(NEXT) | instid1(VALU_DEP_1)
	v_lshl_or_b32 v2, v17, 21, v2
                                        ; implicit-def: $vgpr17
	v_add_nc_u32_e32 v5, 0x38000000, v2
                                        ; implicit-def: $vgpr2
.LBB2_892:                              ;   in Loop: Header=BB2_380 Depth=3
	s_and_not1_saveexec_b32 s22, s22
; %bb.893:                              ;   in Loop: Header=BB2_380 Depth=3
	v_bfe_i32 v2, v2, 0, 8
	s_delay_alu instid0(VALU_DEP_1) | instskip(SKIP_2) | instid1(VALU_DEP_2)
	v_cmp_lt_i16_e32 vcc_lo, -1, v2
	v_cndmask_b32_e32 v2, 0xff800000, v21, vcc_lo
	v_cmp_eq_u32_e32 vcc_lo, 0, v17
	v_cndmask_b32_e32 v5, 0x7f800001, v2, vcc_lo
; %bb.894:                              ;   in Loop: Header=BB2_380 Depth=3
	s_or_b32 exec_lo, exec_lo, s22
.LBB2_895:                              ;   in Loop: Header=BB2_380 Depth=3
	s_delay_alu instid0(SALU_CYCLE_1)
	s_or_b32 exec_lo, exec_lo, s21
.LBB2_896:                              ;   in Loop: Header=BB2_380 Depth=3
	s_delay_alu instid0(SALU_CYCLE_1) | instskip(NEXT) | instid1(VALU_DEP_1)
	s_or_b32 exec_lo, exec_lo, s8
	v_dual_add_f32 v5, v16, v5 :: v_dual_mov_b32 v45, v65
	s_delay_alu instid0(VALU_DEP_1) | instskip(SKIP_2) | instid1(VALU_DEP_2)
	v_dual_mov_b32 v17, v65 :: v_dual_lshrrev_b32 v2, 24, v5
	v_and_b32_e32 v44, 0x7f800000, v5
	v_and_b32_e32 v16, 0x7fffff, v5
	v_cmp_ne_u64_e32 vcc_lo, 0x7f800000, v[44:45]
                                        ; implicit-def: $vgpr44
	s_and_saveexec_b32 s8, vcc_lo
	s_delay_alu instid0(SALU_CYCLE_1)
	s_xor_b32 s21, exec_lo, s8
	s_cbranch_execz .LBB2_910
; %bb.897:                              ;   in Loop: Header=BB2_380 Depth=3
	v_and_b32_e32 v44, 0x7fffffff, v5
	v_mov_b32_e32 v45, v65
	v_and_b32_e32 v2, 0x80, v2
	s_delay_alu instid0(VALU_DEP_2) | instskip(SKIP_1) | instid1(SALU_CYCLE_1)
	v_cmp_gt_u64_e32 vcc_lo, 0x47600001, v[44:45]
                                        ; implicit-def: $vgpr44
	s_and_saveexec_b32 s8, vcc_lo
	s_xor_b32 s22, exec_lo, s8
	s_cbranch_execz .LBB2_907
; %bb.898:                              ;   in Loop: Header=BB2_380 Depth=3
	v_mov_b32_e32 v44, 0
	s_mov_b32 s23, exec_lo
	v_cmpx_ne_u32_e32 0, v5
	s_cbranch_execz .LBB2_906
; %bb.899:                              ;   in Loop: Header=BB2_380 Depth=3
	v_bfe_u32 v5, v5, 23, 8
	v_or_b32_e32 v77, 0x800000, v16
	s_delay_alu instid0(VALU_DEP_2) | instskip(SKIP_1) | instid1(VALU_DEP_2)
	v_sub_nc_u32_e32 v44, 0x71, v5
	v_cmp_gt_u32_e32 vcc_lo, 0x72, v5
	v_cndmask_b32_e32 v44, 0, v44, vcc_lo
	v_cmp_eq_u32_e32 vcc_lo, 0, v5
	s_delay_alu instid0(VALU_DEP_2) | instskip(SKIP_1) | instid1(VALU_DEP_2)
	v_cndmask_b32_e64 v76, v44, 0x70, vcc_lo
	v_cndmask_b32_e32 v16, v77, v16, vcc_lo
	v_dual_add_nc_u32 v44, 21, v76 :: v_dual_add_nc_u32 v78, 20, v76
	s_delay_alu instid0(VALU_DEP_1) | instskip(NEXT) | instid1(VALU_DEP_2)
	v_lshlrev_b64_e64 v[44:45], v44, -1
	v_lshlrev_b64_e64 v[78:79], v78, 1
	s_delay_alu instid0(VALU_DEP_2) | instskip(SKIP_1) | instid1(VALU_DEP_4)
	v_bfi_b32 v44, v44, 0, v16
	v_lshrrev_b64 v[16:17], v76, v[16:17]
	v_bfi_b32 v45, v45, 0, 0
	s_delay_alu instid0(VALU_DEP_1) | instskip(NEXT) | instid1(VALU_DEP_3)
	v_cmp_eq_u64_e64 s8, v[44:45], v[78:79]
	v_mov_b64_e32 v[44:45], v[16:17]
	s_and_saveexec_b32 s24, s8
; %bb.900:                              ;   in Loop: Header=BB2_380 Depth=3
	v_bfe_u32 v44, v16, 21, 1
	v_mov_b32_e32 v45, v65
	s_delay_alu instid0(VALU_DEP_1) | instskip(NEXT) | instid1(VALU_DEP_1)
	v_add_nc_u64_e32 v[44:45], v[16:17], v[44:45]
	v_add_nc_u64_e32 v[44:45], -1, v[44:45]
; %bb.901:                              ;   in Loop: Header=BB2_380 Depth=3
	s_or_b32 exec_lo, exec_lo, s24
	v_add_nc_u32_e32 v5, 0xffffff81, v5
	v_lshrrev_b32_e32 v17, 23, v16
	s_mov_b32 s8, exec_lo
	s_delay_alu instid0(VALU_DEP_2) | instskip(NEXT) | instid1(VALU_DEP_1)
	v_cndmask_b32_e64 v5, v5, 0xffffff82, vcc_lo
	v_add3_u32 v45, v76, v5, v17
	v_and_b32_e32 v5, 0x1fffff, v44
	s_delay_alu instid0(VALU_DEP_2) | instskip(NEXT) | instid1(VALU_DEP_2)
	v_dual_mov_b32 v17, v65 :: v_dual_add_nc_u32 v44, 14, v45
	v_add_nc_u32_e32 v16, v5, v16
                                        ; implicit-def: $vgpr5
	s_delay_alu instid0(VALU_DEP_2)
	v_cmpx_ne_u32_e32 0, v44
	s_xor_b32 s8, exec_lo, s8
; %bb.902:                              ;   in Loop: Header=BB2_380 Depth=3
	s_delay_alu instid0(VALU_DEP_2) | instskip(SKIP_1) | instid1(VALU_DEP_1)
	v_cmp_lt_u64_e32 vcc_lo, 0xffffff, v[16:17]
	v_add_nc_u32_e32 v5, 15, v45
	v_cndmask_b32_e32 v5, v44, v5, vcc_lo
	v_cndmask_b32_e64 v44, 0, 1, vcc_lo
	s_delay_alu instid0(VALU_DEP_1)
	v_lshrrev_b64 v[16:17], v44, v[16:17]
; %bb.903:                              ;   in Loop: Header=BB2_380 Depth=3
	s_and_not1_saveexec_b32 s8, s8
; %bb.904:                              ;   in Loop: Header=BB2_380 Depth=3
	s_delay_alu instid0(VALU_DEP_1)
	v_bfe_u32 v5, v16, 23, 1
; %bb.905:                              ;   in Loop: Header=BB2_380 Depth=3
	s_or_b32 exec_lo, exec_lo, s8
	s_delay_alu instid0(VALU_DEP_2) | instskip(NEXT) | instid1(VALU_DEP_2)
	v_lshrrev_b64 v[16:17], 21, v[16:17]
	v_cmp_gt_i32_e32 vcc_lo, 32, v5
	v_min_i32_e32 v44, 31, v5
	v_cmp_eq_u32_e64 s8, 0, v5
	s_delay_alu instid0(VALU_DEP_4) | instskip(NEXT) | instid1(VALU_DEP_3)
	v_cndmask_b32_e32 v16, 3, v16, vcc_lo
	v_dual_cndmask_b32 v17, 0, v17 :: v_dual_lshlrev_b32 v44, 2, v44
	s_delay_alu instid0(VALU_DEP_1) | instskip(NEXT) | instid1(VALU_DEP_2)
	v_and_b32_e32 v44, 0xfc, v44
	v_cmp_eq_u64_e32 vcc_lo, 0, v[16:17]
	s_delay_alu instid0(VALU_DEP_2)
	v_and_or_b32 v5, v16, 3, v44
	s_and_b32 s8, s8, vcc_lo
	s_delay_alu instid0(VALU_DEP_1) | instid1(SALU_CYCLE_1)
	v_cndmask_b32_e64 v5, v5, 0, s8
	s_delay_alu instid0(VALU_DEP_1)
	v_or_b32_e32 v44, v5, v2
.LBB2_906:                              ;   in Loop: Header=BB2_380 Depth=3
	s_or_b32 exec_lo, exec_lo, s23
                                        ; implicit-def: $vgpr2
.LBB2_907:                              ;   in Loop: Header=BB2_380 Depth=3
	s_and_not1_saveexec_b32 s8, s22
; %bb.908:                              ;   in Loop: Header=BB2_380 Depth=3
	v_or_b32_e32 v44, 0x7b, v2
; %bb.909:                              ;   in Loop: Header=BB2_380 Depth=3
	s_or_b32 exec_lo, exec_lo, s8
                                        ; implicit-def: $vgpr5
                                        ; implicit-def: $vgpr16_vgpr17
                                        ; implicit-def: $vgpr2
.LBB2_910:                              ;   in Loop: Header=BB2_380 Depth=3
	s_and_not1_saveexec_b32 s8, s21
	s_cbranch_execz .LBB2_916
; %bb.911:                              ;   in Loop: Header=BB2_380 Depth=3
	s_mov_b32 s21, exec_lo
                                        ; implicit-def: $vgpr44
	v_cmpx_ne_u64_e32 0, v[16:17]
	s_xor_b32 s21, exec_lo, s21
; %bb.912:                              ;   in Loop: Header=BB2_380 Depth=3
	v_or_b32_e32 v44, 0x7f, v2
                                        ; implicit-def: $vgpr5
; %bb.913:                              ;   in Loop: Header=BB2_380 Depth=3
	s_and_not1_saveexec_b32 s21, s21
; %bb.914:                              ;   in Loop: Header=BB2_380 Depth=3
	v_cmp_lt_i32_e32 vcc_lo, -1, v5
	v_cndmask_b32_e32 v44, 0xfc, v59, vcc_lo
; %bb.915:                              ;   in Loop: Header=BB2_380 Depth=3
	s_or_b32 exec_lo, exec_lo, s21
.LBB2_916:                              ;   in Loop: Header=BB2_380 Depth=3
	s_delay_alu instid0(SALU_CYCLE_1) | instskip(SKIP_3) | instid1(VALU_DEP_2)
	s_or_b32 exec_lo, exec_lo, s8
	v_dual_mov_b32 v16, v65 :: v_dual_mov_b32 v17, v18
	v_dual_mov_b32 v45, 0 :: v_dual_mov_b32 v76, 0
	s_mov_b32 s8, exec_lo
	v_cmpx_lt_u64_e64 s[12:13], v[16:17]
	s_cbranch_execz .LBB2_926
; %bb.917:                              ;   in Loop: Header=BB2_380 Depth=3
	v_lshrrev_b32_e32 v2, 24, v18
	v_bfrev_b32_e32 v76, 1
	s_mov_b32 s21, exec_lo
	s_delay_alu instid0(VALU_DEP_2)
	v_cmpx_ne_u32_e32 0x80, v2
	s_cbranch_execz .LBB2_925
; %bb.918:                              ;   in Loop: Header=BB2_380 Depth=3
	v_and_b32_e32 v76, 0x7c000000, v18
	v_bfe_u32 v5, v18, 24, 2
	s_delay_alu instid0(VALU_DEP_2) | instskip(SKIP_1) | instid1(SALU_CYCLE_1)
	v_cmp_ne_u32_e32 vcc_lo, 0x7c000000, v76
                                        ; implicit-def: $vgpr76
	s_and_saveexec_b32 s22, vcc_lo
	s_xor_b32 s22, exec_lo, s22
	s_cbranch_execz .LBB2_922
; %bb.919:                              ;   in Loop: Header=BB2_380 Depth=3
	v_bfe_u32 v16, v18, 26, 5
	s_mov_b32 s23, exec_lo
	s_delay_alu instid0(VALU_DEP_1)
	v_cmpx_eq_u32_e32 0, v16
; %bb.920:                              ;   in Loop: Header=BB2_380 Depth=3
	v_clz_i32_u32_e32 v5, v5
	s_delay_alu instid0(VALU_DEP_1) | instskip(NEXT) | instid1(VALU_DEP_1)
	v_min_u32_e32 v5, 32, v5
	v_subrev_nc_u32_e32 v16, 29, v5
	s_delay_alu instid0(VALU_DEP_1) | instskip(NEXT) | instid1(VALU_DEP_1)
	v_lshlrev_b64_e32 v[76:77], v16, v[2:3]
	v_dual_sub_nc_u32 v16, 30, v5 :: v_dual_bitop2_b32 v5, 3, v76 bitop3:0x40
; %bb.921:                              ;   in Loop: Header=BB2_380 Depth=3
	s_or_b32 exec_lo, exec_lo, s23
	v_and_b32_e32 v2, 0x80000000, v18
	s_delay_alu instid0(VALU_DEP_1) | instskip(NEXT) | instid1(VALU_DEP_1)
	v_lshl_add_u32 v2, v16, 23, v2
                                        ; implicit-def: $vgpr16_vgpr17
	v_lshl_or_b32 v2, v5, 21, v2
                                        ; implicit-def: $vgpr5
	s_delay_alu instid0(VALU_DEP_1)
	v_add_nc_u32_e32 v76, 0x38000000, v2
.LBB2_922:                              ;   in Loop: Header=BB2_380 Depth=3
	s_and_not1_saveexec_b32 s22, s22
; %bb.923:                              ;   in Loop: Header=BB2_380 Depth=3
	v_cmp_lt_i64_e32 vcc_lo, -1, v[16:17]
	v_cndmask_b32_e32 v2, 0xff800000, v21, vcc_lo
	v_cmp_eq_u32_e32 vcc_lo, 0, v5
	s_delay_alu instid0(VALU_DEP_2)
	v_cndmask_b32_e32 v76, 0x7f800001, v2, vcc_lo
; %bb.924:                              ;   in Loop: Header=BB2_380 Depth=3
	s_or_b32 exec_lo, exec_lo, s22
.LBB2_925:                              ;   in Loop: Header=BB2_380 Depth=3
	s_delay_alu instid0(SALU_CYCLE_1)
	s_or_b32 exec_lo, exec_lo, s21
.LBB2_926:                              ;   in Loop: Header=BB2_380 Depth=3
	s_delay_alu instid0(SALU_CYCLE_1) | instskip(NEXT) | instid1(SALU_CYCLE_1)
	s_or_b32 exec_lo, exec_lo, s8
	s_mov_b32 s8, exec_lo
	v_cmpx_lt_u32_e32 0xffffff, v4
	s_cbranch_execz .LBB2_936
; %bb.927:                              ;   in Loop: Header=BB2_380 Depth=3
	v_lshrrev_b32_e32 v2, 24, v4
	v_bfrev_b32_e32 v45, 1
	s_mov_b32 s21, exec_lo
	s_delay_alu instid0(VALU_DEP_2)
	v_cmpx_ne_u32_e32 0x80, v2
	s_cbranch_execz .LBB2_935
; %bb.928:                              ;   in Loop: Header=BB2_380 Depth=3
	v_and_b32_e32 v5, 0x7c000000, v4
	v_bfe_u32 v16, v4, 24, 2
	s_mov_b32 s22, exec_lo
                                        ; implicit-def: $vgpr45
	s_delay_alu instid0(VALU_DEP_2)
	v_cmpx_ne_u32_e32 0x7c000000, v5
	s_xor_b32 s22, exec_lo, s22
	s_cbranch_execz .LBB2_932
; %bb.929:                              ;   in Loop: Header=BB2_380 Depth=3
	v_bfe_u32 v5, v4, 26, 5
	s_mov_b32 s23, exec_lo
	s_delay_alu instid0(VALU_DEP_1)
	v_cmpx_eq_u32_e32 0, v5
; %bb.930:                              ;   in Loop: Header=BB2_380 Depth=3
	v_clz_i32_u32_e32 v5, v16
	s_delay_alu instid0(VALU_DEP_1) | instskip(NEXT) | instid1(VALU_DEP_1)
	v_min_u32_e32 v5, 32, v5
	v_subrev_nc_u32_e32 v16, 29, v5
	s_delay_alu instid0(VALU_DEP_1) | instskip(NEXT) | instid1(VALU_DEP_1)
	v_lshlrev_b64_e32 v[16:17], v16, v[2:3]
	v_dual_sub_nc_u32 v5, 30, v5 :: v_dual_bitop2_b32 v16, 3, v16 bitop3:0x40
; %bb.931:                              ;   in Loop: Header=BB2_380 Depth=3
	s_or_b32 exec_lo, exec_lo, s23
	v_and_b32_e32 v2, 0x80000000, v4
	s_delay_alu instid0(VALU_DEP_1) | instskip(NEXT) | instid1(VALU_DEP_1)
	v_lshl_add_u32 v2, v5, 23, v2
                                        ; implicit-def: $vgpr4_vgpr5
	v_lshl_or_b32 v2, v16, 21, v2
                                        ; implicit-def: $vgpr16
	s_delay_alu instid0(VALU_DEP_1)
	v_add_nc_u32_e32 v45, 0x38000000, v2
.LBB2_932:                              ;   in Loop: Header=BB2_380 Depth=3
	s_and_not1_saveexec_b32 s22, s22
; %bb.933:                              ;   in Loop: Header=BB2_380 Depth=3
	v_cmp_lt_i32_e32 vcc_lo, -1, v4
	v_cndmask_b32_e32 v2, 0xff800000, v21, vcc_lo
	v_cmp_eq_u32_e32 vcc_lo, 0, v16
	s_delay_alu instid0(VALU_DEP_2)
	v_cndmask_b32_e32 v45, 0x7f800001, v2, vcc_lo
; %bb.934:                              ;   in Loop: Header=BB2_380 Depth=3
	s_or_b32 exec_lo, exec_lo, s22
.LBB2_935:                              ;   in Loop: Header=BB2_380 Depth=3
	s_delay_alu instid0(SALU_CYCLE_1)
	s_or_b32 exec_lo, exec_lo, s21
.LBB2_936:                              ;   in Loop: Header=BB2_380 Depth=3
	s_delay_alu instid0(SALU_CYCLE_1) | instskip(NEXT) | instid1(VALU_DEP_1)
	s_or_b32 exec_lo, exec_lo, s8
	v_dual_add_f32 v17, v76, v45 :: v_dual_mov_b32 v77, v65
	v_mov_b32_e32 v5, v65
                                        ; implicit-def: $vgpr16
	s_mov_b32 s8, exec_lo
	s_delay_alu instid0(VALU_DEP_2) | instskip(SKIP_2) | instid1(VALU_DEP_3)
	v_and_b32_e32 v76, 0x7f800000, v17
	v_and_b32_e32 v4, 0x7fffff, v17
	v_lshrrev_b32_e32 v2, 24, v17
	v_cmpx_ne_u64_e32 0x7f800000, v[76:77]
	s_xor_b32 s21, exec_lo, s8
	s_cbranch_execz .LBB2_950
; %bb.937:                              ;   in Loop: Header=BB2_380 Depth=3
	v_and_b32_e32 v76, 0x7fffffff, v17
	v_mov_b32_e32 v77, v65
	v_and_b32_e32 v2, 0x80, v2
                                        ; implicit-def: $vgpr16
	s_mov_b32 s8, exec_lo
	s_delay_alu instid0(VALU_DEP_2)
	v_cmpx_gt_u64_e32 0x47600001, v[76:77]
	s_xor_b32 s22, exec_lo, s8
	s_cbranch_execz .LBB2_947
; %bb.938:                              ;   in Loop: Header=BB2_380 Depth=3
	v_mov_b32_e32 v16, 0
	s_mov_b32 s23, exec_lo
	v_cmpx_ne_u32_e32 0, v17
	s_cbranch_execz .LBB2_946
; %bb.939:                              ;   in Loop: Header=BB2_380 Depth=3
	v_bfe_u32 v18, v17, 23, 8
	v_or_b32_e32 v76, 0x800000, v4
	s_delay_alu instid0(VALU_DEP_2) | instskip(SKIP_1) | instid1(VALU_DEP_2)
	v_sub_nc_u32_e32 v16, 0x71, v18
	v_cmp_gt_u32_e32 vcc_lo, 0x72, v18
	v_cndmask_b32_e32 v16, 0, v16, vcc_lo
	v_cmp_eq_u32_e32 vcc_lo, 0, v18
	s_delay_alu instid0(VALU_DEP_2) | instskip(NEXT) | instid1(VALU_DEP_1)
	v_cndmask_b32_e64 v45, v16, 0x70, vcc_lo
	v_dual_cndmask_b32 v4, v76, v4, vcc_lo :: v_dual_add_nc_u32 v16, 21, v45
	v_add_nc_u32_e32 v77, 20, v45
	s_delay_alu instid0(VALU_DEP_2) | instskip(NEXT) | instid1(VALU_DEP_2)
	v_lshlrev_b64_e64 v[16:17], v16, -1
	v_lshlrev_b64_e64 v[76:77], v77, 1
	s_delay_alu instid0(VALU_DEP_2) | instskip(SKIP_1) | instid1(VALU_DEP_4)
	v_bfi_b32 v16, v16, 0, v4
	v_lshrrev_b64 v[4:5], v45, v[4:5]
	v_bfi_b32 v17, v17, 0, 0
	s_delay_alu instid0(VALU_DEP_1) | instskip(NEXT) | instid1(VALU_DEP_3)
	v_cmp_eq_u64_e64 s8, v[16:17], v[76:77]
	v_mov_b64_e32 v[16:17], v[4:5]
	s_and_saveexec_b32 s24, s8
; %bb.940:                              ;   in Loop: Header=BB2_380 Depth=3
	v_bfe_u32 v16, v4, 21, 1
	v_mov_b32_e32 v17, v65
	s_delay_alu instid0(VALU_DEP_1) | instskip(NEXT) | instid1(VALU_DEP_1)
	v_add_nc_u64_e32 v[16:17], v[4:5], v[16:17]
	v_add_nc_u64_e32 v[16:17], -1, v[16:17]
; %bb.941:                              ;   in Loop: Header=BB2_380 Depth=3
	s_or_b32 exec_lo, exec_lo, s24
	v_add_nc_u32_e32 v5, 0xffffff81, v18
	v_lshrrev_b32_e32 v17, 23, v4
	s_mov_b32 s8, exec_lo
	s_delay_alu instid0(VALU_DEP_2) | instskip(NEXT) | instid1(VALU_DEP_1)
	v_cndmask_b32_e64 v5, v5, 0xffffff82, vcc_lo
	v_add3_u32 v17, v45, v5, v17
	v_and_b32_e32 v5, 0x1fffff, v16
                                        ; implicit-def: $vgpr16
	s_delay_alu instid0(VALU_DEP_1) | instskip(SKIP_1) | instid1(VALU_DEP_2)
	v_dual_add_nc_u32 v18, 14, v17 :: v_dual_add_nc_u32 v4, v5, v4
	v_mov_b32_e32 v5, v65
	v_cmpx_ne_u32_e32 0, v18
	s_xor_b32 s8, exec_lo, s8
; %bb.942:                              ;   in Loop: Header=BB2_380 Depth=3
	s_delay_alu instid0(VALU_DEP_2) | instskip(SKIP_2) | instid1(VALU_DEP_2)
	v_cmp_lt_u64_e32 vcc_lo, 0xffffff, v[4:5]
	v_add_nc_u32_e32 v16, 15, v17
	v_cndmask_b32_e64 v17, 0, 1, vcc_lo
	v_cndmask_b32_e32 v16, v18, v16, vcc_lo
	s_delay_alu instid0(VALU_DEP_2)
	v_lshrrev_b64 v[4:5], v17, v[4:5]
; %bb.943:                              ;   in Loop: Header=BB2_380 Depth=3
	s_and_not1_saveexec_b32 s8, s8
; %bb.944:                              ;   in Loop: Header=BB2_380 Depth=3
	s_delay_alu instid0(VALU_DEP_1)
	v_bfe_u32 v16, v4, 23, 1
; %bb.945:                              ;   in Loop: Header=BB2_380 Depth=3
	s_or_b32 exec_lo, exec_lo, s8
	s_delay_alu instid0(VALU_DEP_2) | instskip(NEXT) | instid1(VALU_DEP_2)
	v_lshrrev_b64 v[4:5], 21, v[4:5]
	v_cmp_gt_i32_e32 vcc_lo, 32, v16
	v_min_i32_e32 v17, 31, v16
	v_cmp_eq_u32_e64 s8, 0, v16
	s_delay_alu instid0(VALU_DEP_4) | instskip(NEXT) | instid1(VALU_DEP_3)
	v_cndmask_b32_e32 v5, 0, v5, vcc_lo
	v_dual_cndmask_b32 v4, 3, v4 :: v_dual_lshlrev_b32 v17, 2, v17
	s_delay_alu instid0(VALU_DEP_1) | instskip(NEXT) | instid1(VALU_DEP_2)
	v_and_b32_e32 v17, 0xfc, v17
	v_cmp_eq_u64_e32 vcc_lo, 0, v[4:5]
	s_delay_alu instid0(VALU_DEP_2)
	v_and_or_b32 v4, v4, 3, v17
	s_and_b32 s8, s8, vcc_lo
	s_delay_alu instid0(VALU_DEP_1) | instid1(SALU_CYCLE_1)
	v_cndmask_b32_e64 v4, v4, 0, s8
	s_delay_alu instid0(VALU_DEP_1)
	v_or_b32_e32 v16, v4, v2
.LBB2_946:                              ;   in Loop: Header=BB2_380 Depth=3
	s_or_b32 exec_lo, exec_lo, s23
                                        ; implicit-def: $vgpr2
.LBB2_947:                              ;   in Loop: Header=BB2_380 Depth=3
	s_and_not1_saveexec_b32 s8, s22
; %bb.948:                              ;   in Loop: Header=BB2_380 Depth=3
	v_or_b32_e32 v16, 0x7b, v2
; %bb.949:                              ;   in Loop: Header=BB2_380 Depth=3
	s_or_b32 exec_lo, exec_lo, s8
                                        ; implicit-def: $vgpr17
                                        ; implicit-def: $vgpr4_vgpr5
                                        ; implicit-def: $vgpr2
.LBB2_950:                              ;   in Loop: Header=BB2_380 Depth=3
	s_and_not1_saveexec_b32 s8, s21
	s_cbranch_execz .LBB2_379
; %bb.951:                              ;   in Loop: Header=BB2_380 Depth=3
	s_mov_b32 s21, exec_lo
                                        ; implicit-def: $vgpr16
	v_cmpx_ne_u64_e32 0, v[4:5]
	s_xor_b32 s21, exec_lo, s21
; %bb.952:                              ;   in Loop: Header=BB2_380 Depth=3
	v_or_b32_e32 v16, 0x7f, v2
                                        ; implicit-def: $vgpr17
; %bb.953:                              ;   in Loop: Header=BB2_380 Depth=3
	s_and_not1_saveexec_b32 s21, s21
	s_cbranch_execz .LBB2_378
; %bb.954:                              ;   in Loop: Header=BB2_380 Depth=3
	v_cmp_lt_i32_e32 vcc_lo, -1, v17
	v_cndmask_b32_e32 v16, 0xfc, v59, vcc_lo
	s_branch .LBB2_378
.LBB2_955:                              ;   in Loop: Header=BB2_335 Depth=2
	s_or_b32 exec_lo, exec_lo, s20
	s_delay_alu instid0(SALU_CYCLE_1)
	s_or_b32 exec_lo, exec_lo, s19
	s_and_saveexec_b32 s8, s3
	s_cbranch_execz .LBB2_372
.LBB2_956:                              ;   in Loop: Header=BB2_335 Depth=2
	s_and_saveexec_b32 s19, s4
	s_delay_alu instid0(SALU_CYCLE_1)
	s_xor_b32 s19, exec_lo, s19
	s_cbranch_execz .LBB2_971
; %bb.957:                              ;   in Loop: Header=BB2_335 Depth=2
	s_and_saveexec_b32 s20, s5
	s_cbranch_execz .LBB2_970
; %bb.958:                              ;   in Loop: Header=BB2_335 Depth=2
	s_mov_b32 s22, exec_lo
	s_mov_b32 s21, exec_lo
	v_mbcnt_lo_u32_b32 v2, s22, 0
	global_wb scope:SCOPE_DEV
	s_wait_storecnt 0x0
	s_wait_loadcnt_dscnt 0x0
	global_inv scope:SCOPE_DEV
	v_cmpx_eq_u32_e32 0, v2
	s_cbranch_execz .LBB2_960
; %bb.959:                              ;   in Loop: Header=BB2_335 Depth=2
	s_bcnt1_i32_b32 s22, s22
	s_delay_alu instid0(SALU_CYCLE_1)
	v_dual_mov_b32 v5, v65 :: v_dual_mov_b32 v4, s22
	s_wait_loadcnt 0x0
	ds_add_u64 v0, v[4:5]
	s_trap 2
.LBB2_960:                              ;   in Loop: Header=BB2_335 Depth=2
	s_or_b32 exec_lo, exec_lo, s21
	s_trap 2
	ds_load_b64 v[4:5], v0
	s_wait_dscnt 0x0
	v_add_nc_u64_e32 v[52:53], v[52:53], v[82:83]
	s_mov_b32 s21, exec_lo
	s_delay_alu instid0(VALU_DEP_1)
	v_cmpx_lt_u64_e64 v[4:5], v[52:53]
	s_cbranch_execz .LBB2_969
; %bb.961:                              ;   in Loop: Header=BB2_335 Depth=2
	s_mov_b32 s22, 0
	s_mov_b32 s25, 0
                                        ; implicit-def: $sgpr23
                                        ; implicit-def: $sgpr24
	s_branch .LBB2_963
.LBB2_962:                              ;   in Loop: Header=BB2_963 Depth=3
	s_or_b32 exec_lo, exec_lo, s27
	s_delay_alu instid0(SALU_CYCLE_1) | instskip(NEXT) | instid1(SALU_CYCLE_1)
	s_and_b32 s26, exec_lo, s28
	s_or_b32 s22, s26, s22
	s_and_not1_b32 s23, s23, exec_lo
	s_and_b32 s26, s24, exec_lo
	s_delay_alu instid0(SALU_CYCLE_1)
	s_or_b32 s23, s23, s26
	s_and_not1_b32 exec_lo, exec_lo, s22
	s_cbranch_execz .LBB2_967
.LBB2_963:                              ;   Parent Loop BB2_46 Depth=1
                                        ;     Parent Loop BB2_335 Depth=2
                                        ; =>    This Inner Loop Header: Depth=3
	s_add_co_i32 s25, s25, 1
	s_delay_alu instid0(SALU_CYCLE_1) | instskip(SKIP_1) | instid1(SALU_CYCLE_1)
	s_cmp_lg_u32 s25, 0x2710
	s_cselect_b32 s26, -1, 0
	s_and_b32 vcc_lo, exec_lo, s26
	s_cbranch_vccz .LBB2_965
; %bb.964:                              ;   in Loop: Header=BB2_963 Depth=3
	s_mov_b32 s28, -1
	s_or_b32 s24, s24, exec_lo
	s_and_saveexec_b32 s27, s26
	s_cbranch_execz .LBB2_962
	s_branch .LBB2_966
.LBB2_965:                              ;   in Loop: Header=BB2_963 Depth=3
	s_trap 2
	ds_load_b64 v[4:5], v0
	s_and_not1_b32 s26, s26, exec_lo
	s_mov_b32 s25, 0
	s_wait_loadcnt_dscnt 0x0
	flat_load_b32 v2, v[4:5] scope:SCOPE_SYS
	s_wait_loadcnt_dscnt 0x0
	global_inv scope:SCOPE_SYS
	v_cmp_eq_u32_e32 vcc_lo, 0, v2
	s_and_b32 s27, vcc_lo, exec_lo
	s_delay_alu instid0(SALU_CYCLE_1)
	s_or_b32 s26, s26, s27
	s_mov_b32 s28, -1
	s_or_b32 s24, s24, exec_lo
	s_and_saveexec_b32 s27, s26
	s_cbranch_execz .LBB2_962
.LBB2_966:                              ;   in Loop: Header=BB2_963 Depth=3
	s_sleep 1
	s_trap 2
	ds_load_b64 v[4:5], v0
	s_wait_dscnt 0x0
	s_and_not1_b32 s24, s24, exec_lo
	v_cmp_ge_u64_e32 vcc_lo, v[4:5], v[52:53]
	s_or_not1_b32 s28, vcc_lo, exec_lo
	s_branch .LBB2_962
.LBB2_967:                              ;   in Loop: Header=BB2_335 Depth=2
	s_or_b32 exec_lo, exec_lo, s22
	s_and_saveexec_b32 s22, s23
	s_delay_alu instid0(SALU_CYCLE_1)
	s_xor_b32 s22, exec_lo, s22
	s_cbranch_execz .LBB2_969
; %bb.968:                              ;   in Loop: Header=BB2_335 Depth=2
	ds_store_b32 v0, v1
	s_trap 2
.LBB2_969:                              ;   in Loop: Header=BB2_335 Depth=2
	s_or_b32 exec_lo, exec_lo, s21
	;;#ASMSTART
	s_wakeup
	;;#ASMEND
.LBB2_970:                              ;   in Loop: Header=BB2_335 Depth=2
	s_or_b32 exec_lo, exec_lo, s20
.LBB2_971:                              ;   in Loop: Header=BB2_335 Depth=2
	s_and_not1_saveexec_b32 s19, s19
	s_cbranch_execz .LBB2_973
; %bb.972:                              ;   in Loop: Header=BB2_335 Depth=2
	global_wb scope:SCOPE_DEV
	s_wait_storecnt 0x0
	s_wait_loadcnt_dscnt 0x0
	global_inv scope:SCOPE_DEV
	s_barrier_signal -1
	s_barrier_wait -1
.LBB2_973:                              ;   in Loop: Header=BB2_335 Depth=2
	s_or_b32 exec_lo, exec_lo, s19
	s_delay_alu instid0(SALU_CYCLE_1)
	s_or_b32 exec_lo, exec_lo, s8
	s_and_saveexec_b32 s8, s6
	s_cbranch_execnz .LBB2_373
	s_branch .LBB2_374
.LBB2_974:                              ;   in Loop: Header=BB2_46 Depth=1
	s_delay_alu instid0(VALU_DEP_1)
	v_mov_b64_e32 v[16:17], v[114:115]
	s_and_saveexec_b32 s8, s7
	s_cbranch_execnz .LBB2_977
; %bb.975:                              ;   in Loop: Header=BB2_46 Depth=1
	s_or_b32 exec_lo, exec_lo, s8
	s_and_saveexec_b32 s7, s3
	s_cbranch_execnz .LBB2_1574
.LBB2_976:                              ;   in Loop: Header=BB2_46 Depth=1
	s_or_b32 exec_lo, exec_lo, s7
	s_and_saveexec_b32 s7, s6
	s_cbranch_execz .LBB2_45
	s_branch .LBB2_1592
.LBB2_977:                              ;   in Loop: Header=BB2_46 Depth=1
	flat_load_b32 v4, v[22:23]
	v_add_nc_u64_e32 v[2:3], v[10:11], v[112:113]
	v_dual_mov_b32 v116, v0 :: v_dual_bitop2_b32 v5, 7, v34 bitop3:0x40
	s_mov_b32 s18, 0
	v_add_nc_u32_e32 v42, 1, v34
	s_wait_loadcnt_dscnt 0x0
	s_delay_alu instid0(VALU_DEP_3) | instskip(SKIP_1) | instid1(VALU_DEP_2)
	v_mad_nc_u64_u32 v[2:3], v68, v4, v[2:3]
	v_ashrrev_i32_e32 v18, 31, v4
	v_mad_u32 v3, v69, v4, v3
	v_mul_lo_u32 v4, v5, s15
	s_delay_alu instid0(VALU_DEP_2) | instskip(NEXT) | instid1(VALU_DEP_2)
	v_mad_u32 v3, v68, v18, v3
	v_ashrrev_i32_e32 v5, 31, v4
	v_add_nc_u64_e32 v[18:19], v[8:9], v[112:113]
	s_delay_alu instid0(VALU_DEP_2) | instskip(NEXT) | instid1(VALU_DEP_4)
	v_lshl_add_u64 v[114:115], v[4:5], 4, v[32:33]
	v_add_nc_u64_e32 v[112:113], v[2:3], v[84:85]
	s_branch .LBB2_979
.LBB2_978:                              ;   in Loop: Header=BB2_979 Depth=2
	v_dual_sub_nc_u32 v61, v61, v86 :: v_dual_add_nc_u32 v116, v116, v20
	v_add_nc_u64_e32 v[112:113], v[112:113], v[86:87]
	s_wait_xcnt 0x0
	v_add_nc_u64_e32 v[18:19], v[18:19], v[86:87]
	s_delay_alu instid0(VALU_DEP_3) | instskip(SKIP_1) | instid1(SALU_CYCLE_1)
	v_cmp_gt_i32_e32 vcc_lo, 1, v61
	s_or_b32 s18, vcc_lo, s18
	s_and_not1_b32 exec_lo, exec_lo, s18
	s_cbranch_execz .LBB2_1573
.LBB2_979:                              ;   Parent Loop BB2_46 Depth=1
                                        ; =>  This Loop Header: Depth=2
                                        ;       Child Loop BB2_987 Depth 3
	s_delay_alu instid0(VALU_DEP_1)
	v_dual_mov_b32 v3, v113 :: v_dual_bitop2_b32 v2, -4, v112 bitop3:0x40
	v_min_u32_e32 v4, 8, v61
	v_dual_mov_b32 v43, 0 :: v_dual_bitop2_b32 v5, 3, v112 bitop3:0x40
	v_mov_b32_e32 v45, 0
	global_load_b32 v30, v[2:3], off th:TH_LOAD_NT
	s_mov_b32 s7, exec_lo
	v_add_nc_u32_e32 v64, v5, v4
	s_wait_xcnt 0x0
	s_delay_alu instid0(VALU_DEP_1)
	v_cmpx_lt_u32_e32 4, v64
	s_cbranch_execz .LBB2_981
; %bb.980:                              ;   in Loop: Header=BB2_979 Depth=2
	global_load_b32 v45, v[2:3], off offset:4 th:TH_LOAD_NT
.LBB2_981:                              ;   in Loop: Header=BB2_979 Depth=2
	s_wait_xcnt 0x0
	s_or_b32 exec_lo, exec_lo, s7
	s_delay_alu instid0(SALU_CYCLE_1)
	s_mov_b32 s7, exec_lo
	v_cmpx_lt_u64_e32 8, v[64:65]
	s_cbranch_execz .LBB2_983
; %bb.982:                              ;   in Loop: Header=BB2_979 Depth=2
	global_load_b32 v43, v[2:3], off offset:8 th:TH_LOAD_NT
.LBB2_983:                              ;   in Loop: Header=BB2_979 Depth=2
	s_wait_xcnt 0x0
	s_or_b32 exec_lo, exec_lo, s7
	v_mov_b32_e32 v117, v65
	v_cmp_eq_u32_e32 vcc_lo, 0, v60
	v_mov_b32_e32 v60, 1
	s_delay_alu instid0(VALU_DEP_3)
	v_lshl_add_u64 v[118:119], v[116:117], 4, v[114:115]
	global_load_b128 v[2:5], v[118:119], off th:TH_LOAD_NT
	s_wait_xcnt 0x0
	s_and_saveexec_b32 s19, vcc_lo
	s_cbranch_execz .LBB2_995
; %bb.984:                              ;   in Loop: Header=BB2_979 Depth=2
	s_wait_loadcnt 0x0
	v_cmp_ne_u32_e32 vcc_lo, v42, v3
	v_cmp_ne_u32_e64 s7, v42, v5
	v_mov_b32_e32 v60, 0
	s_or_b32 s7, vcc_lo, s7
	s_delay_alu instid0(SALU_CYCLE_1)
	s_and_saveexec_b32 s20, s7
	s_cbranch_execz .LBB2_994
; %bb.985:                              ;   in Loop: Header=BB2_979 Depth=2
	s_mov_b32 s24, 1
	s_mov_b32 s22, 0
                                        ; implicit-def: $sgpr21
                                        ; implicit-def: $sgpr23
	s_branch .LBB2_987
.LBB2_986:                              ;   in Loop: Header=BB2_987 Depth=3
	s_or_b32 exec_lo, exec_lo, s26
	s_delay_alu instid0(SALU_CYCLE_1) | instskip(NEXT) | instid1(SALU_CYCLE_1)
	s_and_b32 s7, exec_lo, s7
	s_or_b32 s22, s7, s22
	s_and_not1_b32 s7, s21, exec_lo
	s_and_b32 s21, s23, exec_lo
	s_delay_alu instid0(SALU_CYCLE_1)
	s_or_b32 s21, s7, s21
	s_and_not1_b32 exec_lo, exec_lo, s22
	s_cbranch_execz .LBB2_991
.LBB2_987:                              ;   Parent Loop BB2_46 Depth=1
                                        ;     Parent Loop BB2_979 Depth=2
                                        ; =>    This Inner Loop Header: Depth=3
	s_wait_loadcnt 0x0
	global_load_b128 v[2:5], v[118:119], off th:TH_LOAD_NT
	s_add_co_i32 s24, s24, 1
	s_mov_b32 s7, -1
	s_cmp_lg_u32 s24, 0x2710
	s_mov_b32 s25, -1
                                        ; implicit-def: $vgpr64
	s_cbranch_scc0 .LBB2_989
; %bb.988:                              ;   in Loop: Header=BB2_987 Depth=3
	s_or_b32 s23, s23, exec_lo
	s_wait_xcnt 0x0
	s_and_saveexec_b32 s26, s25
	s_cbranch_execz .LBB2_986
	s_branch .LBB2_990
.LBB2_989:                              ;   in Loop: Header=BB2_987 Depth=3
	s_trap 2
	ds_load_b64 v[40:41], v0
	s_mov_b32 s24, 0
	s_wait_storecnt 0x0
	s_wait_loadcnt_dscnt 0x0
	flat_load_b32 v64, v[40:41] scope:SCOPE_SYS
	s_wait_loadcnt_dscnt 0x0
	global_inv scope:SCOPE_SYS
	v_cmp_eq_u32_e32 vcc_lo, 0, v64
	s_or_not1_b32 s25, vcc_lo, exec_lo
	s_or_b32 s23, s23, exec_lo
	s_wait_xcnt 0x0
	s_and_saveexec_b32 s26, s25
	s_cbranch_execz .LBB2_986
.LBB2_990:                              ;   in Loop: Header=BB2_987 Depth=3
	s_wait_loadcnt 0x0
	v_cmp_eq_u32_e32 vcc_lo, v42, v3
	v_cmp_eq_u32_e64 s7, v42, v5
	s_and_not1_b32 s23, s23, exec_lo
	s_and_b32 s7, vcc_lo, s7
	s_delay_alu instid0(SALU_CYCLE_1)
	s_or_not1_b32 s7, s7, exec_lo
	s_branch .LBB2_986
.LBB2_991:                              ;   in Loop: Header=BB2_979 Depth=2
	s_or_b32 exec_lo, exec_lo, s22
	v_mov_b32_e32 v60, 0
	s_and_saveexec_b32 s7, s21
	s_delay_alu instid0(SALU_CYCLE_1)
	s_xor_b32 s7, exec_lo, s7
	s_cbranch_execz .LBB2_993
; %bb.992:                              ;   in Loop: Header=BB2_979 Depth=2
	v_mov_b32_e32 v60, 1
	s_wait_loadcnt 0x0
	s_wait_storecnt 0x0
	ds_store_b32 v0, v64
	s_trap 2
.LBB2_993:                              ;   in Loop: Header=BB2_979 Depth=2
	s_or_b32 exec_lo, exec_lo, s7
.LBB2_994:                              ;   in Loop: Header=BB2_979 Depth=2
	s_delay_alu instid0(SALU_CYCLE_1)
	s_or_b32 exec_lo, exec_lo, s20
.LBB2_995:                              ;   in Loop: Header=BB2_979 Depth=2
	s_delay_alu instid0(SALU_CYCLE_1) | instskip(SKIP_2) | instid1(VALU_DEP_1)
	s_or_b32 exec_lo, exec_lo, s19
	v_lshlrev_b32_e32 v46, 3, v112
	s_wait_loadcnt 0x1
	v_alignbit_b32 v64, v45, v30, v46
	s_delay_alu instid0(VALU_DEP_1) | instskip(NEXT) | instid1(VALU_DEP_1)
	v_and_b32_e32 v30, 0xff, v64
	v_cmp_ne_u16_e32 vcc_lo, 0, v30
	v_mov_b32_e32 v30, 0
	s_and_saveexec_b32 s7, vcc_lo
	s_cbranch_execz .LBB2_1005
; %bb.996:                              ;   in Loop: Header=BB2_979 Depth=2
	v_bfe_i32 v118, v64, 0, 8
	v_bfrev_b32_e32 v30, 1
	s_mov_b32 s19, exec_lo
	s_delay_alu instid0(VALU_DEP_2)
	v_cmpx_ne_u16_e32 0xff80, v118
	s_cbranch_execz .LBB2_1004
; %bb.997:                              ;   in Loop: Header=BB2_979 Depth=2
	v_and_b32_e32 v30, 0x7c, v64
	v_and_b32_e32 v117, 3, v64
	s_delay_alu instid0(VALU_DEP_2) | instskip(SKIP_1) | instid1(SALU_CYCLE_1)
	v_cmp_ne_u32_e32 vcc_lo, 0x7c, v30
                                        ; implicit-def: $vgpr30
	s_and_saveexec_b32 s20, vcc_lo
	s_xor_b32 s20, exec_lo, s20
	s_cbranch_execz .LBB2_1001
; %bb.998:                              ;   in Loop: Header=BB2_979 Depth=2
	v_bfe_u32 v30, v64, 2, 5
	s_mov_b32 s21, exec_lo
	s_delay_alu instid0(VALU_DEP_1)
	v_cmpx_eq_u32_e32 0, v30
; %bb.999:                              ;   in Loop: Header=BB2_979 Depth=2
	v_clz_i32_u32_e32 v30, v117
	s_delay_alu instid0(VALU_DEP_1) | instskip(NEXT) | instid1(VALU_DEP_1)
	v_min_u32_e32 v30, 32, v30
	v_subrev_nc_u32_e32 v117, 29, v30
	v_sub_nc_u32_e32 v30, 30, v30
	s_delay_alu instid0(VALU_DEP_2) | instskip(NEXT) | instid1(VALU_DEP_1)
	v_lshlrev_b64_e32 v[118:119], v117, v[64:65]
	v_and_b32_e32 v117, 3, v118
; %bb.1000:                             ;   in Loop: Header=BB2_979 Depth=2
	s_or_b32 exec_lo, exec_lo, s21
	v_lshlrev_b32_e32 v118, 24, v64
	s_delay_alu instid0(VALU_DEP_1) | instskip(NEXT) | instid1(VALU_DEP_1)
	v_and_b32_e32 v118, 0x80000000, v118
	v_lshl_add_u32 v30, v30, 23, v118
                                        ; implicit-def: $vgpr118
	s_delay_alu instid0(VALU_DEP_1) | instskip(NEXT) | instid1(VALU_DEP_1)
	v_lshl_or_b32 v30, v117, 21, v30
                                        ; implicit-def: $vgpr117
	v_add_nc_u32_e32 v30, 0x38000000, v30
.LBB2_1001:                             ;   in Loop: Header=BB2_979 Depth=2
	s_and_not1_saveexec_b32 s20, s20
; %bb.1002:                             ;   in Loop: Header=BB2_979 Depth=2
	v_cmp_lt_i16_e32 vcc_lo, -1, v118
	v_cndmask_b32_e32 v30, 0xff800000, v21, vcc_lo
	v_cmp_eq_u32_e32 vcc_lo, 0, v117
	s_delay_alu instid0(VALU_DEP_2)
	v_cndmask_b32_e32 v30, 0x7f800001, v30, vcc_lo
; %bb.1003:                             ;   in Loop: Header=BB2_979 Depth=2
	s_or_b32 exec_lo, exec_lo, s20
.LBB2_1004:                             ;   in Loop: Header=BB2_979 Depth=2
	s_delay_alu instid0(SALU_CYCLE_1)
	s_or_b32 exec_lo, exec_lo, s19
.LBB2_1005:                             ;   in Loop: Header=BB2_979 Depth=2
	s_delay_alu instid0(SALU_CYCLE_1) | instskip(NEXT) | instid1(VALU_DEP_1)
	s_or_b32 exec_lo, exec_lo, s7
	v_dual_mul_f32 v40, v56, v30 :: v_dual_mov_b32 v63, v65
	v_mov_b32_e32 v119, v65
                                        ; implicit-def: $vgpr117
	s_mov_b32 s7, exec_lo
	s_delay_alu instid0(VALU_DEP_2) | instskip(SKIP_2) | instid1(VALU_DEP_3)
	v_and_b32_e32 v62, 0x7f800000, v40
	v_and_b32_e32 v118, 0x7fffff, v40
	v_lshrrev_b32_e32 v30, 24, v40
	v_cmpx_ne_u64_e32 0x7f800000, v[62:63]
	s_xor_b32 s19, exec_lo, s7
	s_cbranch_execz .LBB2_1019
; %bb.1006:                             ;   in Loop: Header=BB2_979 Depth=2
	v_and_b32_e32 v62, 0x7fffffff, v40
	v_mov_b32_e32 v63, v65
	v_and_b32_e32 v30, 0x80, v30
                                        ; implicit-def: $vgpr117
	s_mov_b32 s7, exec_lo
	s_delay_alu instid0(VALU_DEP_2)
	v_cmpx_gt_u64_e32 0x47600001, v[62:63]
	s_xor_b32 s20, exec_lo, s7
	s_cbranch_execz .LBB2_1016
; %bb.1007:                             ;   in Loop: Header=BB2_979 Depth=2
	v_mov_b32_e32 v117, 0
	s_mov_b32 s21, exec_lo
	v_cmpx_ne_u32_e32 0, v40
	s_cbranch_execz .LBB2_1015
; %bb.1008:                             ;   in Loop: Header=BB2_979 Depth=2
	v_bfe_u32 v117, v40, 23, 8
	v_or_b32_e32 v47, 0x800000, v118
	s_delay_alu instid0(VALU_DEP_2) | instskip(SKIP_1) | instid1(VALU_DEP_2)
	v_sub_nc_u32_e32 v40, 0x71, v117
	v_cmp_gt_u32_e32 vcc_lo, 0x72, v117
	v_cndmask_b32_e32 v40, 0, v40, vcc_lo
	v_cmp_eq_u32_e32 vcc_lo, 0, v117
	v_cndmask_b32_e32 v118, v47, v118, vcc_lo
	s_delay_alu instid0(VALU_DEP_3) | instskip(NEXT) | instid1(VALU_DEP_1)
	v_cndmask_b32_e64 v44, v40, 0x70, vcc_lo
	v_dual_add_nc_u32 v40, 21, v44 :: v_dual_add_nc_u32 v62, 20, v44
	s_delay_alu instid0(VALU_DEP_1) | instskip(NEXT) | instid1(VALU_DEP_2)
	v_lshlrev_b64_e64 v[40:41], v40, -1
	v_lshlrev_b64_e64 v[62:63], v62, 1
	s_delay_alu instid0(VALU_DEP_2) | instskip(SKIP_1) | instid1(VALU_DEP_4)
	v_bfi_b32 v40, v40, 0, v118
	v_lshrrev_b64 v[118:119], v44, v[118:119]
	v_bfi_b32 v41, v41, 0, 0
	s_delay_alu instid0(VALU_DEP_1) | instskip(NEXT) | instid1(VALU_DEP_3)
	v_cmp_eq_u64_e64 s7, v[40:41], v[62:63]
	v_mov_b64_e32 v[40:41], v[118:119]
	s_and_saveexec_b32 s22, s7
; %bb.1009:                             ;   in Loop: Header=BB2_979 Depth=2
	v_bfe_u32 v40, v118, 21, 1
	v_mov_b32_e32 v41, v65
	s_delay_alu instid0(VALU_DEP_1) | instskip(NEXT) | instid1(VALU_DEP_1)
	v_add_nc_u64_e32 v[40:41], v[118:119], v[40:41]
	v_add_nc_u64_e32 v[40:41], -1, v[40:41]
; %bb.1010:                             ;   in Loop: Header=BB2_979 Depth=2
	s_or_b32 exec_lo, exec_lo, s22
	v_add_nc_u32_e32 v117, 0xffffff81, v117
	v_lshrrev_b32_e32 v119, 23, v118
	s_mov_b32 s7, exec_lo
	s_delay_alu instid0(VALU_DEP_2) | instskip(NEXT) | instid1(VALU_DEP_1)
	v_cndmask_b32_e64 v117, v117, 0xffffff82, vcc_lo
	v_add3_u32 v41, v44, v117, v119
	v_and_b32_e32 v117, 0x1fffff, v40
	s_delay_alu instid0(VALU_DEP_2) | instskip(NEXT) | instid1(VALU_DEP_2)
	v_dual_mov_b32 v119, v65 :: v_dual_add_nc_u32 v40, 14, v41
	v_add_nc_u32_e32 v118, v117, v118
                                        ; implicit-def: $vgpr117
	s_delay_alu instid0(VALU_DEP_2)
	v_cmpx_ne_u32_e32 0, v40
	s_xor_b32 s7, exec_lo, s7
; %bb.1011:                             ;   in Loop: Header=BB2_979 Depth=2
	s_delay_alu instid0(VALU_DEP_2) | instskip(SKIP_1) | instid1(VALU_DEP_1)
	v_cmp_lt_u64_e32 vcc_lo, 0xffffff, v[118:119]
	v_add_nc_u32_e32 v117, 15, v41
	v_cndmask_b32_e32 v117, v40, v117, vcc_lo
	v_cndmask_b32_e64 v40, 0, 1, vcc_lo
	s_delay_alu instid0(VALU_DEP_1)
	v_lshrrev_b64 v[118:119], v40, v[118:119]
; %bb.1012:                             ;   in Loop: Header=BB2_979 Depth=2
	s_and_not1_saveexec_b32 s7, s7
; %bb.1013:                             ;   in Loop: Header=BB2_979 Depth=2
	s_delay_alu instid0(VALU_DEP_1)
	v_bfe_u32 v117, v118, 23, 1
; %bb.1014:                             ;   in Loop: Header=BB2_979 Depth=2
	s_or_b32 exec_lo, exec_lo, s7
	s_delay_alu instid0(VALU_DEP_2) | instskip(NEXT) | instid1(VALU_DEP_2)
	v_lshrrev_b64 v[118:119], 21, v[118:119]
	v_cmp_gt_i32_e32 vcc_lo, 32, v117
	v_min_i32_e32 v40, 31, v117
	v_cmp_eq_u32_e64 s7, 0, v117
	s_delay_alu instid0(VALU_DEP_2) | instskip(SKIP_1) | instid1(VALU_DEP_2)
	v_dual_cndmask_b32 v119, 0, v119 :: v_dual_lshlrev_b32 v40, 2, v40
	v_cndmask_b32_e32 v118, 3, v118, vcc_lo
	v_and_b32_e32 v40, 0xfc, v40
	s_delay_alu instid0(VALU_DEP_2) | instskip(NEXT) | instid1(VALU_DEP_2)
	v_cmp_eq_u64_e32 vcc_lo, 0, v[118:119]
	v_and_or_b32 v117, v118, 3, v40
	s_and_b32 s7, s7, vcc_lo
	s_delay_alu instid0(VALU_DEP_1) | instid1(SALU_CYCLE_1)
	v_cndmask_b32_e64 v117, v117, 0, s7
	s_delay_alu instid0(VALU_DEP_1)
	v_or_b32_e32 v117, v117, v30
.LBB2_1015:                             ;   in Loop: Header=BB2_979 Depth=2
	s_or_b32 exec_lo, exec_lo, s21
                                        ; implicit-def: $vgpr30
.LBB2_1016:                             ;   in Loop: Header=BB2_979 Depth=2
	s_and_not1_saveexec_b32 s7, s20
; %bb.1017:                             ;   in Loop: Header=BB2_979 Depth=2
	v_or_b32_e32 v117, 0x7b, v30
; %bb.1018:                             ;   in Loop: Header=BB2_979 Depth=2
	s_or_b32 exec_lo, exec_lo, s7
                                        ; implicit-def: $vgpr40
                                        ; implicit-def: $vgpr118_vgpr119
                                        ; implicit-def: $vgpr30
.LBB2_1019:                             ;   in Loop: Header=BB2_979 Depth=2
	s_and_not1_saveexec_b32 s7, s19
	s_cbranch_execz .LBB2_1025
; %bb.1020:                             ;   in Loop: Header=BB2_979 Depth=2
	s_mov_b32 s19, exec_lo
                                        ; implicit-def: $vgpr117
	v_cmpx_ne_u64_e32 0, v[118:119]
	s_xor_b32 s19, exec_lo, s19
; %bb.1021:                             ;   in Loop: Header=BB2_979 Depth=2
	v_or_b32_e32 v117, 0x7f, v30
                                        ; implicit-def: $vgpr40
; %bb.1022:                             ;   in Loop: Header=BB2_979 Depth=2
	s_and_not1_saveexec_b32 s19, s19
; %bb.1023:                             ;   in Loop: Header=BB2_979 Depth=2
	v_cmp_lt_i32_e32 vcc_lo, -1, v40
	v_cndmask_b32_e32 v117, 0xfc, v59, vcc_lo
; %bb.1024:                             ;   in Loop: Header=BB2_979 Depth=2
	s_or_b32 exec_lo, exec_lo, s19
.LBB2_1025:                             ;   in Loop: Header=BB2_979 Depth=2
	s_delay_alu instid0(SALU_CYCLE_1) | instskip(SKIP_3) | instid1(VALU_DEP_2)
	s_or_b32 exec_lo, exec_lo, s7
	v_lshrrev_b16 v118, 8, v64
	v_mov_b32_e32 v119, 0
	s_mov_b32 s7, exec_lo
	v_cmpx_ne_u16_e32 0, v118
	s_cbranch_execz .LBB2_1035
; %bb.1026:                             ;   in Loop: Header=BB2_979 Depth=2
	v_bfrev_b32_e32 v119, 1
	s_mov_b32 s19, exec_lo
	v_cmpx_ne_u16_e32 0x80, v118
	s_cbranch_execz .LBB2_1034
; %bb.1027:                             ;   in Loop: Header=BB2_979 Depth=2
	v_and_b32_e32 v40, 0xffff, v118
	s_delay_alu instid0(VALU_DEP_1) | instskip(SKIP_1) | instid1(VALU_DEP_2)
	v_and_b32_e32 v119, 0x7c, v40
	v_and_b32_e32 v30, 3, v40
	v_cmp_ne_u32_e32 vcc_lo, 0x7c, v119
                                        ; implicit-def: $vgpr119
	s_and_saveexec_b32 s20, vcc_lo
	s_delay_alu instid0(SALU_CYCLE_1)
	s_xor_b32 s20, exec_lo, s20
	s_cbranch_execz .LBB2_1031
; %bb.1028:                             ;   in Loop: Header=BB2_979 Depth=2
	v_bfe_u32 v119, v40, 2, 5
	s_mov_b32 s21, exec_lo
	s_delay_alu instid0(VALU_DEP_1)
	v_cmpx_eq_u32_e32 0, v119
	s_cbranch_execz .LBB2_1030
; %bb.1029:                             ;   in Loop: Header=BB2_979 Depth=2
	v_clz_i32_u32_e32 v30, v30
	v_mov_b32_e32 v119, v65
	s_delay_alu instid0(VALU_DEP_2) | instskip(NEXT) | instid1(VALU_DEP_1)
	v_min_u32_e32 v30, 32, v30
	v_subrev_nc_u32_e32 v40, 29, v30
	s_delay_alu instid0(VALU_DEP_1) | instskip(SKIP_1) | instid1(VALU_DEP_2)
	v_lshlrev_b64_e32 v[118:119], v40, v[118:119]
	v_sub_nc_u32_e32 v119, 30, v30
	v_and_b32_e32 v30, 3, v118
.LBB2_1030:                             ;   in Loop: Header=BB2_979 Depth=2
	s_or_b32 exec_lo, exec_lo, s21
	v_lshlrev_b32_e32 v118, 16, v64
	s_delay_alu instid0(VALU_DEP_1) | instskip(NEXT) | instid1(VALU_DEP_1)
	v_and_b32_e32 v118, 0x80000000, v118
	v_lshl_add_u32 v118, v119, 23, v118
	s_delay_alu instid0(VALU_DEP_1) | instskip(NEXT) | instid1(VALU_DEP_1)
	v_lshl_or_b32 v30, v30, 21, v118
	v_add_nc_u32_e32 v119, 0x38000000, v30
                                        ; implicit-def: $vgpr30
.LBB2_1031:                             ;   in Loop: Header=BB2_979 Depth=2
	s_and_not1_saveexec_b32 s20, s20
; %bb.1032:                             ;   in Loop: Header=BB2_979 Depth=2
	v_cmp_lt_i16_e32 vcc_lo, -1, v64
	v_cndmask_b32_e32 v118, 0xff800000, v21, vcc_lo
	v_cmp_eq_u32_e32 vcc_lo, 0, v30
	s_delay_alu instid0(VALU_DEP_2)
	v_cndmask_b32_e32 v119, 0x7f800001, v118, vcc_lo
; %bb.1033:                             ;   in Loop: Header=BB2_979 Depth=2
	s_or_b32 exec_lo, exec_lo, s20
.LBB2_1034:                             ;   in Loop: Header=BB2_979 Depth=2
	s_delay_alu instid0(SALU_CYCLE_1)
	s_or_b32 exec_lo, exec_lo, s19
.LBB2_1035:                             ;   in Loop: Header=BB2_979 Depth=2
	s_delay_alu instid0(SALU_CYCLE_1) | instskip(NEXT) | instid1(VALU_DEP_1)
	s_or_b32 exec_lo, exec_lo, s7
	v_dual_mul_f32 v40, v56, v119 :: v_dual_mov_b32 v63, v65
	v_mov_b32_e32 v119, v65
                                        ; implicit-def: $vgpr44
	s_mov_b32 s7, exec_lo
	s_delay_alu instid0(VALU_DEP_2) | instskip(SKIP_2) | instid1(VALU_DEP_3)
	v_and_b32_e32 v62, 0x7f800000, v40
	v_and_b32_e32 v118, 0x7fffff, v40
	v_lshrrev_b32_e32 v30, 24, v40
	v_cmpx_ne_u64_e32 0x7f800000, v[62:63]
	s_xor_b32 s19, exec_lo, s7
	s_cbranch_execz .LBB2_1049
; %bb.1036:                             ;   in Loop: Header=BB2_979 Depth=2
	v_and_b32_e32 v62, 0x7fffffff, v40
	v_mov_b32_e32 v63, v65
	v_and_b32_e32 v30, 0x80, v30
                                        ; implicit-def: $vgpr44
	s_mov_b32 s7, exec_lo
	s_delay_alu instid0(VALU_DEP_2)
	v_cmpx_gt_u64_e32 0x47600001, v[62:63]
	s_xor_b32 s20, exec_lo, s7
	s_cbranch_execz .LBB2_1046
; %bb.1037:                             ;   in Loop: Header=BB2_979 Depth=2
	v_mov_b32_e32 v44, 0
	s_mov_b32 s21, exec_lo
	v_cmpx_ne_u32_e32 0, v40
	s_cbranch_execz .LBB2_1045
; %bb.1038:                             ;   in Loop: Header=BB2_979 Depth=2
	v_bfe_u32 v44, v40, 23, 8
	v_or_b32_e32 v62, 0x800000, v118
	s_delay_alu instid0(VALU_DEP_2) | instskip(SKIP_1) | instid1(VALU_DEP_2)
	v_sub_nc_u32_e32 v40, 0x71, v44
	v_cmp_gt_u32_e32 vcc_lo, 0x72, v44
	v_cndmask_b32_e32 v40, 0, v40, vcc_lo
	v_cmp_eq_u32_e32 vcc_lo, 0, v44
	s_delay_alu instid0(VALU_DEP_2) | instskip(NEXT) | instid1(VALU_DEP_1)
	v_cndmask_b32_e64 v47, v40, 0x70, vcc_lo
	v_dual_cndmask_b32 v118, v62, v118, vcc_lo :: v_dual_add_nc_u32 v40, 21, v47
	v_add_nc_u32_e32 v63, 20, v47
	s_delay_alu instid0(VALU_DEP_2) | instskip(NEXT) | instid1(VALU_DEP_2)
	v_lshlrev_b64_e64 v[40:41], v40, -1
	v_lshlrev_b64_e64 v[62:63], v63, 1
	s_delay_alu instid0(VALU_DEP_2) | instskip(SKIP_1) | instid1(VALU_DEP_4)
	v_bfi_b32 v40, v40, 0, v118
	v_lshrrev_b64 v[118:119], v47, v[118:119]
	v_bfi_b32 v41, v41, 0, 0
	s_delay_alu instid0(VALU_DEP_1) | instskip(NEXT) | instid1(VALU_DEP_3)
	v_cmp_eq_u64_e64 s7, v[40:41], v[62:63]
	v_mov_b64_e32 v[40:41], v[118:119]
	s_and_saveexec_b32 s22, s7
; %bb.1039:                             ;   in Loop: Header=BB2_979 Depth=2
	v_bfe_u32 v40, v118, 21, 1
	v_mov_b32_e32 v41, v65
	s_delay_alu instid0(VALU_DEP_1) | instskip(NEXT) | instid1(VALU_DEP_1)
	v_add_nc_u64_e32 v[40:41], v[118:119], v[40:41]
	v_add_nc_u64_e32 v[40:41], -1, v[40:41]
; %bb.1040:                             ;   in Loop: Header=BB2_979 Depth=2
	s_or_b32 exec_lo, exec_lo, s22
	v_add_nc_u32_e32 v119, 0xffffff81, v44
	v_lshrrev_b32_e32 v41, 23, v118
	s_mov_b32 s7, exec_lo
	s_delay_alu instid0(VALU_DEP_2) | instskip(NEXT) | instid1(VALU_DEP_1)
	v_cndmask_b32_e64 v119, v119, 0xffffff82, vcc_lo
	v_add3_u32 v41, v47, v119, v41
	v_and_b32_e32 v119, 0x1fffff, v40
                                        ; implicit-def: $vgpr40
	s_delay_alu instid0(VALU_DEP_1) | instskip(SKIP_1) | instid1(VALU_DEP_2)
	v_dual_add_nc_u32 v44, 14, v41 :: v_dual_add_nc_u32 v118, v119, v118
	v_mov_b32_e32 v119, v65
	v_cmpx_ne_u32_e32 0, v44
	s_xor_b32 s7, exec_lo, s7
; %bb.1041:                             ;   in Loop: Header=BB2_979 Depth=2
	s_delay_alu instid0(VALU_DEP_2) | instskip(SKIP_2) | instid1(VALU_DEP_2)
	v_cmp_lt_u64_e32 vcc_lo, 0xffffff, v[118:119]
	v_add_nc_u32_e32 v40, 15, v41
	v_cndmask_b32_e64 v41, 0, 1, vcc_lo
	v_cndmask_b32_e32 v40, v44, v40, vcc_lo
	s_delay_alu instid0(VALU_DEP_2)
	v_lshrrev_b64 v[118:119], v41, v[118:119]
; %bb.1042:                             ;   in Loop: Header=BB2_979 Depth=2
	s_and_not1_saveexec_b32 s7, s7
; %bb.1043:                             ;   in Loop: Header=BB2_979 Depth=2
	s_delay_alu instid0(VALU_DEP_1)
	v_bfe_u32 v40, v118, 23, 1
; %bb.1044:                             ;   in Loop: Header=BB2_979 Depth=2
	s_or_b32 exec_lo, exec_lo, s7
	s_delay_alu instid0(VALU_DEP_2) | instskip(NEXT) | instid1(VALU_DEP_2)
	v_lshrrev_b64 v[118:119], 21, v[118:119]
	v_cmp_gt_i32_e32 vcc_lo, 32, v40
	v_min_i32_e32 v41, 31, v40
	v_cmp_eq_u32_e64 s7, 0, v40
	s_delay_alu instid0(VALU_DEP_2) | instskip(SKIP_1) | instid1(VALU_DEP_2)
	v_dual_cndmask_b32 v119, 0, v119, vcc_lo :: v_dual_lshlrev_b32 v41, 2, v41
	v_cndmask_b32_e32 v118, 3, v118, vcc_lo
	v_and_b32_e32 v41, 0xfc, v41
	s_delay_alu instid0(VALU_DEP_2) | instskip(NEXT) | instid1(VALU_DEP_2)
	v_cmp_eq_u64_e32 vcc_lo, 0, v[118:119]
	v_and_or_b32 v118, v118, 3, v41
	s_and_b32 s7, s7, vcc_lo
	s_delay_alu instid0(VALU_DEP_1) | instid1(SALU_CYCLE_1)
	v_cndmask_b32_e64 v118, v118, 0, s7
	s_delay_alu instid0(VALU_DEP_1)
	v_or_b32_e32 v44, v118, v30
.LBB2_1045:                             ;   in Loop: Header=BB2_979 Depth=2
	s_or_b32 exec_lo, exec_lo, s21
                                        ; implicit-def: $vgpr30
.LBB2_1046:                             ;   in Loop: Header=BB2_979 Depth=2
	s_and_not1_saveexec_b32 s7, s20
; %bb.1047:                             ;   in Loop: Header=BB2_979 Depth=2
	v_or_b32_e32 v44, 0x7b, v30
; %bb.1048:                             ;   in Loop: Header=BB2_979 Depth=2
	s_or_b32 exec_lo, exec_lo, s7
                                        ; implicit-def: $vgpr40
                                        ; implicit-def: $vgpr118_vgpr119
                                        ; implicit-def: $vgpr30
.LBB2_1049:                             ;   in Loop: Header=BB2_979 Depth=2
	s_and_not1_saveexec_b32 s7, s19
	s_cbranch_execz .LBB2_1055
; %bb.1050:                             ;   in Loop: Header=BB2_979 Depth=2
	s_mov_b32 s19, exec_lo
                                        ; implicit-def: $vgpr44
	v_cmpx_ne_u64_e32 0, v[118:119]
	s_xor_b32 s19, exec_lo, s19
; %bb.1051:                             ;   in Loop: Header=BB2_979 Depth=2
	v_or_b32_e32 v44, 0x7f, v30
                                        ; implicit-def: $vgpr40
; %bb.1052:                             ;   in Loop: Header=BB2_979 Depth=2
	s_and_not1_saveexec_b32 s19, s19
; %bb.1053:                             ;   in Loop: Header=BB2_979 Depth=2
	v_cmp_lt_i32_e32 vcc_lo, -1, v40
	v_cndmask_b32_e32 v44, 0xfc, v59, vcc_lo
; %bb.1054:                             ;   in Loop: Header=BB2_979 Depth=2
	s_or_b32 exec_lo, exec_lo, s19
.LBB2_1055:                             ;   in Loop: Header=BB2_979 Depth=2
	s_delay_alu instid0(SALU_CYCLE_1) | instskip(SKIP_2) | instid1(VALU_DEP_1)
	s_or_b32 exec_lo, exec_lo, s7
	v_dual_mov_b32 v30, 0 :: v_dual_lshrrev_b32 v119, 16, v64
	s_mov_b32 s7, exec_lo
	v_and_b32_e32 v118, 0xff, v119
	s_delay_alu instid0(VALU_DEP_1)
	v_cmpx_ne_u16_e32 0, v118
	s_cbranch_execz .LBB2_1065
; %bb.1056:                             ;   in Loop: Header=BB2_979 Depth=2
	v_bfrev_b32_e32 v30, 1
	s_mov_b32 s19, exec_lo
	v_cmpx_ne_u16_e32 0x80, v118
	s_cbranch_execz .LBB2_1064
; %bb.1057:                             ;   in Loop: Header=BB2_979 Depth=2
	v_and_b32_e32 v30, 0x7c0000, v64
	v_bfe_u32 v118, v64, 16, 2
	s_delay_alu instid0(VALU_DEP_2) | instskip(SKIP_1) | instid1(SALU_CYCLE_1)
	v_cmp_ne_u32_e32 vcc_lo, 0x7c0000, v30
                                        ; implicit-def: $vgpr30
	s_and_saveexec_b32 s20, vcc_lo
	s_xor_b32 s20, exec_lo, s20
	s_cbranch_execz .LBB2_1061
; %bb.1058:                             ;   in Loop: Header=BB2_979 Depth=2
	v_bfe_u32 v119, v64, 18, 5
	v_lshrrev_b32_e32 v30, 16, v64
	s_mov_b32 s21, exec_lo
	s_delay_alu instid0(VALU_DEP_2)
	v_cmpx_eq_u32_e32 0, v119
; %bb.1059:                             ;   in Loop: Header=BB2_979 Depth=2
	v_clz_i32_u32_e32 v118, v118
	s_delay_alu instid0(VALU_DEP_1) | instskip(NEXT) | instid1(VALU_DEP_1)
	v_min_u32_e32 v40, 32, v118
	v_subrev_nc_u32_e32 v118, 29, v40
	s_delay_alu instid0(VALU_DEP_1) | instskip(NEXT) | instid1(VALU_DEP_1)
	v_lshlrev_b64_e32 v[118:119], v118, v[30:31]
	v_dual_sub_nc_u32 v119, 30, v40 :: v_dual_bitop2_b32 v118, 3, v118 bitop3:0x40
; %bb.1060:                             ;   in Loop: Header=BB2_979 Depth=2
	s_or_b32 exec_lo, exec_lo, s21
	v_lshlrev_b32_e32 v30, 24, v30
	s_delay_alu instid0(VALU_DEP_1) | instskip(NEXT) | instid1(VALU_DEP_1)
	v_and_b32_e32 v30, 0x80000000, v30
	v_lshl_add_u32 v30, v119, 23, v30
                                        ; implicit-def: $vgpr119
	s_delay_alu instid0(VALU_DEP_1) | instskip(NEXT) | instid1(VALU_DEP_1)
	v_lshl_or_b32 v30, v118, 21, v30
                                        ; implicit-def: $vgpr118
	v_add_nc_u32_e32 v30, 0x38000000, v30
.LBB2_1061:                             ;   in Loop: Header=BB2_979 Depth=2
	s_and_not1_saveexec_b32 s20, s20
; %bb.1062:                             ;   in Loop: Header=BB2_979 Depth=2
	v_bfe_i32 v30, v119, 0, 8
	s_delay_alu instid0(VALU_DEP_1) | instskip(SKIP_2) | instid1(VALU_DEP_2)
	v_cmp_lt_i16_e32 vcc_lo, -1, v30
	v_cndmask_b32_e32 v30, 0xff800000, v21, vcc_lo
	v_cmp_eq_u32_e32 vcc_lo, 0, v118
	v_cndmask_b32_e32 v30, 0x7f800001, v30, vcc_lo
; %bb.1063:                             ;   in Loop: Header=BB2_979 Depth=2
	s_or_b32 exec_lo, exec_lo, s20
.LBB2_1064:                             ;   in Loop: Header=BB2_979 Depth=2
	s_delay_alu instid0(SALU_CYCLE_1)
	s_or_b32 exec_lo, exec_lo, s19
.LBB2_1065:                             ;   in Loop: Header=BB2_979 Depth=2
	s_delay_alu instid0(SALU_CYCLE_1) | instskip(NEXT) | instid1(VALU_DEP_1)
	s_or_b32 exec_lo, exec_lo, s7
	v_dual_mul_f32 v40, v56, v30 :: v_dual_mov_b32 v63, v65
	s_delay_alu instid0(VALU_DEP_1) | instskip(SKIP_2) | instid1(VALU_DEP_2)
	v_dual_mov_b32 v119, v65 :: v_dual_lshrrev_b32 v30, 24, v40
	v_and_b32_e32 v62, 0x7f800000, v40
	v_and_b32_e32 v118, 0x7fffff, v40
	v_cmp_ne_u64_e32 vcc_lo, 0x7f800000, v[62:63]
                                        ; implicit-def: $vgpr62
	s_and_saveexec_b32 s7, vcc_lo
	s_delay_alu instid0(SALU_CYCLE_1)
	s_xor_b32 s19, exec_lo, s7
	s_cbranch_execz .LBB2_1079
; %bb.1066:                             ;   in Loop: Header=BB2_979 Depth=2
	v_and_b32_e32 v62, 0x7fffffff, v40
	v_mov_b32_e32 v63, v65
	v_and_b32_e32 v30, 0x80, v30
	s_delay_alu instid0(VALU_DEP_2) | instskip(SKIP_1) | instid1(SALU_CYCLE_1)
	v_cmp_gt_u64_e32 vcc_lo, 0x47600001, v[62:63]
                                        ; implicit-def: $vgpr62
	s_and_saveexec_b32 s7, vcc_lo
	s_xor_b32 s20, exec_lo, s7
	s_cbranch_execz .LBB2_1076
; %bb.1067:                             ;   in Loop: Header=BB2_979 Depth=2
	v_mov_b32_e32 v62, 0
	s_mov_b32 s21, exec_lo
	v_cmpx_ne_u32_e32 0, v40
	s_cbranch_execz .LBB2_1075
; %bb.1068:                             ;   in Loop: Header=BB2_979 Depth=2
	v_bfe_u32 v47, v40, 23, 8
	v_or_b32_e32 v63, 0x800000, v118
	s_delay_alu instid0(VALU_DEP_2) | instskip(SKIP_1) | instid1(VALU_DEP_2)
	v_sub_nc_u32_e32 v40, 0x71, v47
	v_cmp_gt_u32_e32 vcc_lo, 0x72, v47
	v_cndmask_b32_e32 v40, 0, v40, vcc_lo
	v_cmp_eq_u32_e32 vcc_lo, 0, v47
	s_delay_alu instid0(VALU_DEP_2) | instskip(SKIP_1) | instid1(VALU_DEP_2)
	v_cndmask_b32_e64 v62, v40, 0x70, vcc_lo
	v_cndmask_b32_e32 v118, v63, v118, vcc_lo
	v_dual_add_nc_u32 v40, 21, v62 :: v_dual_add_nc_u32 v72, 20, v62
	s_delay_alu instid0(VALU_DEP_1) | instskip(NEXT) | instid1(VALU_DEP_2)
	v_lshlrev_b64_e64 v[40:41], v40, -1
	v_lshlrev_b64_e64 v[72:73], v72, 1
	s_delay_alu instid0(VALU_DEP_2) | instskip(SKIP_1) | instid1(VALU_DEP_4)
	v_bfi_b32 v40, v40, 0, v118
	v_lshrrev_b64 v[118:119], v62, v[118:119]
	v_bfi_b32 v41, v41, 0, 0
	s_delay_alu instid0(VALU_DEP_1) | instskip(NEXT) | instid1(VALU_DEP_3)
	v_cmp_eq_u64_e64 s7, v[40:41], v[72:73]
	v_mov_b64_e32 v[40:41], v[118:119]
	s_and_saveexec_b32 s22, s7
; %bb.1069:                             ;   in Loop: Header=BB2_979 Depth=2
	v_bfe_u32 v40, v118, 21, 1
	v_mov_b32_e32 v41, v65
	s_delay_alu instid0(VALU_DEP_1) | instskip(NEXT) | instid1(VALU_DEP_1)
	v_add_nc_u64_e32 v[40:41], v[118:119], v[40:41]
	v_add_nc_u64_e32 v[40:41], -1, v[40:41]
; %bb.1070:                             ;   in Loop: Header=BB2_979 Depth=2
	s_or_b32 exec_lo, exec_lo, s22
	v_add_nc_u32_e32 v119, 0xffffff81, v47
	v_lshrrev_b32_e32 v41, 23, v118
	s_mov_b32 s7, exec_lo
	s_delay_alu instid0(VALU_DEP_2) | instskip(NEXT) | instid1(VALU_DEP_1)
	v_cndmask_b32_e64 v119, v119, 0xffffff82, vcc_lo
	v_add3_u32 v41, v62, v119, v41
	v_and_b32_e32 v119, 0x1fffff, v40
                                        ; implicit-def: $vgpr40
	s_delay_alu instid0(VALU_DEP_1) | instskip(SKIP_1) | instid1(VALU_DEP_2)
	v_dual_add_nc_u32 v47, 14, v41 :: v_dual_add_nc_u32 v118, v119, v118
	v_mov_b32_e32 v119, v65
	v_cmpx_ne_u32_e32 0, v47
	s_xor_b32 s7, exec_lo, s7
; %bb.1071:                             ;   in Loop: Header=BB2_979 Depth=2
	s_delay_alu instid0(VALU_DEP_2) | instskip(SKIP_2) | instid1(VALU_DEP_2)
	v_cmp_lt_u64_e32 vcc_lo, 0xffffff, v[118:119]
	v_add_nc_u32_e32 v40, 15, v41
	v_cndmask_b32_e64 v41, 0, 1, vcc_lo
	v_cndmask_b32_e32 v40, v47, v40, vcc_lo
	s_delay_alu instid0(VALU_DEP_2)
	v_lshrrev_b64 v[118:119], v41, v[118:119]
; %bb.1072:                             ;   in Loop: Header=BB2_979 Depth=2
	s_and_not1_saveexec_b32 s7, s7
; %bb.1073:                             ;   in Loop: Header=BB2_979 Depth=2
	s_delay_alu instid0(VALU_DEP_1)
	v_bfe_u32 v40, v118, 23, 1
; %bb.1074:                             ;   in Loop: Header=BB2_979 Depth=2
	s_or_b32 exec_lo, exec_lo, s7
	s_delay_alu instid0(VALU_DEP_2) | instskip(NEXT) | instid1(VALU_DEP_2)
	v_lshrrev_b64 v[118:119], 21, v[118:119]
	v_cmp_gt_i32_e32 vcc_lo, 32, v40
	v_min_i32_e32 v41, 31, v40
	v_cmp_eq_u32_e64 s7, 0, v40
	s_delay_alu instid0(VALU_DEP_2) | instskip(SKIP_1) | instid1(VALU_DEP_2)
	v_dual_cndmask_b32 v119, 0, v119, vcc_lo :: v_dual_lshlrev_b32 v41, 2, v41
	v_cndmask_b32_e32 v118, 3, v118, vcc_lo
	v_and_b32_e32 v41, 0xfc, v41
	s_delay_alu instid0(VALU_DEP_2) | instskip(NEXT) | instid1(VALU_DEP_2)
	v_cmp_eq_u64_e32 vcc_lo, 0, v[118:119]
	v_and_or_b32 v118, v118, 3, v41
	s_and_b32 s7, s7, vcc_lo
	s_delay_alu instid0(VALU_DEP_1) | instid1(SALU_CYCLE_1)
	v_cndmask_b32_e64 v118, v118, 0, s7
	s_delay_alu instid0(VALU_DEP_1)
	v_or_b32_e32 v62, v118, v30
.LBB2_1075:                             ;   in Loop: Header=BB2_979 Depth=2
	s_or_b32 exec_lo, exec_lo, s21
                                        ; implicit-def: $vgpr30
.LBB2_1076:                             ;   in Loop: Header=BB2_979 Depth=2
	s_and_not1_saveexec_b32 s7, s20
; %bb.1077:                             ;   in Loop: Header=BB2_979 Depth=2
	v_or_b32_e32 v62, 0x7b, v30
; %bb.1078:                             ;   in Loop: Header=BB2_979 Depth=2
	s_or_b32 exec_lo, exec_lo, s7
                                        ; implicit-def: $vgpr40
                                        ; implicit-def: $vgpr118_vgpr119
                                        ; implicit-def: $vgpr30
.LBB2_1079:                             ;   in Loop: Header=BB2_979 Depth=2
	s_and_not1_saveexec_b32 s7, s19
	s_cbranch_execz .LBB2_1085
; %bb.1080:                             ;   in Loop: Header=BB2_979 Depth=2
	s_mov_b32 s19, exec_lo
                                        ; implicit-def: $vgpr62
	v_cmpx_ne_u64_e32 0, v[118:119]
	s_xor_b32 s19, exec_lo, s19
; %bb.1081:                             ;   in Loop: Header=BB2_979 Depth=2
	v_or_b32_e32 v62, 0x7f, v30
                                        ; implicit-def: $vgpr40
; %bb.1082:                             ;   in Loop: Header=BB2_979 Depth=2
	s_and_not1_saveexec_b32 s19, s19
; %bb.1083:                             ;   in Loop: Header=BB2_979 Depth=2
	v_cmp_lt_i32_e32 vcc_lo, -1, v40
	v_cndmask_b32_e32 v62, 0xfc, v59, vcc_lo
; %bb.1084:                             ;   in Loop: Header=BB2_979 Depth=2
	s_or_b32 exec_lo, exec_lo, s19
.LBB2_1085:                             ;   in Loop: Header=BB2_979 Depth=2
	s_delay_alu instid0(SALU_CYCLE_1)
	s_or_b32 exec_lo, exec_lo, s7
	v_mov_b32_e32 v118, 0
	s_mov_b32 s7, exec_lo
	v_cmpx_lt_u32_e32 0xffffff, v64
	s_cbranch_execz .LBB2_1095
; %bb.1086:                             ;   in Loop: Header=BB2_979 Depth=2
	v_lshrrev_b32_e32 v30, 24, v64
	v_bfrev_b32_e32 v118, 1
	s_mov_b32 s19, exec_lo
	s_delay_alu instid0(VALU_DEP_2)
	v_cmpx_ne_u32_e32 0x80, v30
	s_cbranch_execz .LBB2_1094
; %bb.1087:                             ;   in Loop: Header=BB2_979 Depth=2
	v_and_b32_e32 v118, 0x7c000000, v64
	v_bfe_u32 v119, v64, 24, 2
	s_delay_alu instid0(VALU_DEP_2) | instskip(SKIP_1) | instid1(SALU_CYCLE_1)
	v_cmp_ne_u32_e32 vcc_lo, 0x7c000000, v118
                                        ; implicit-def: $vgpr118
	s_and_saveexec_b32 s20, vcc_lo
	s_xor_b32 s20, exec_lo, s20
	s_cbranch_execz .LBB2_1091
; %bb.1088:                             ;   in Loop: Header=BB2_979 Depth=2
	v_bfe_u32 v118, v64, 26, 5
	s_mov_b32 s21, exec_lo
	s_delay_alu instid0(VALU_DEP_1)
	v_cmpx_eq_u32_e32 0, v118
; %bb.1089:                             ;   in Loop: Header=BB2_979 Depth=2
	v_clz_i32_u32_e32 v118, v119
	s_delay_alu instid0(VALU_DEP_1) | instskip(NEXT) | instid1(VALU_DEP_1)
	v_min_u32_e32 v118, 32, v118
	v_subrev_nc_u32_e32 v119, 29, v118
	s_delay_alu instid0(VALU_DEP_1) | instskip(NEXT) | instid1(VALU_DEP_1)
	v_lshlrev_b64_e32 v[40:41], v119, v[30:31]
	v_dual_sub_nc_u32 v118, 30, v118 :: v_dual_bitop2_b32 v119, 3, v40 bitop3:0x40
; %bb.1090:                             ;   in Loop: Header=BB2_979 Depth=2
	s_or_b32 exec_lo, exec_lo, s21
	v_and_b32_e32 v30, 0x80000000, v64
	s_delay_alu instid0(VALU_DEP_1) | instskip(NEXT) | instid1(VALU_DEP_1)
	v_lshl_add_u32 v30, v118, 23, v30
	v_lshl_or_b32 v30, v119, 21, v30
                                        ; implicit-def: $vgpr119
	s_delay_alu instid0(VALU_DEP_1)
	v_add_nc_u32_e32 v118, 0x38000000, v30
.LBB2_1091:                             ;   in Loop: Header=BB2_979 Depth=2
	s_and_not1_saveexec_b32 s20, s20
; %bb.1092:                             ;   in Loop: Header=BB2_979 Depth=2
	v_cmp_lt_i32_e32 vcc_lo, -1, v64
	v_cndmask_b32_e32 v30, 0xff800000, v21, vcc_lo
	v_cmp_eq_u32_e32 vcc_lo, 0, v119
	s_delay_alu instid0(VALU_DEP_2)
	v_cndmask_b32_e32 v118, 0x7f800001, v30, vcc_lo
; %bb.1093:                             ;   in Loop: Header=BB2_979 Depth=2
	s_or_b32 exec_lo, exec_lo, s20
.LBB2_1094:                             ;   in Loop: Header=BB2_979 Depth=2
	s_delay_alu instid0(SALU_CYCLE_1)
	s_or_b32 exec_lo, exec_lo, s19
.LBB2_1095:                             ;   in Loop: Header=BB2_979 Depth=2
	s_delay_alu instid0(SALU_CYCLE_1) | instskip(NEXT) | instid1(VALU_DEP_1)
	s_or_b32 exec_lo, exec_lo, s7
	v_dual_mul_f32 v118, v56, v118 :: v_dual_mov_b32 v41, v65
                                        ; implicit-def: $vgpr63
	s_mov_b32 s7, exec_lo
	s_delay_alu instid0(VALU_DEP_1) | instskip(SKIP_2) | instid1(VALU_DEP_3)
	v_and_b32_e32 v40, 0x7f800000, v118
	v_and_b32_e32 v64, 0x7fffff, v118
	v_lshrrev_b32_e32 v30, 24, v118
	v_cmpx_ne_u64_e32 0x7f800000, v[40:41]
	s_xor_b32 s19, exec_lo, s7
	s_cbranch_execz .LBB2_1109
; %bb.1096:                             ;   in Loop: Header=BB2_979 Depth=2
	v_and_b32_e32 v40, 0x7fffffff, v118
	v_mov_b32_e32 v41, v65
	v_and_b32_e32 v30, 0x80, v30
                                        ; implicit-def: $vgpr63
	s_mov_b32 s7, exec_lo
	s_delay_alu instid0(VALU_DEP_2)
	v_cmpx_gt_u64_e32 0x47600001, v[40:41]
	s_xor_b32 s20, exec_lo, s7
	s_cbranch_execz .LBB2_1106
; %bb.1097:                             ;   in Loop: Header=BB2_979 Depth=2
	v_mov_b32_e32 v63, 0
	s_mov_b32 s21, exec_lo
	v_cmpx_ne_u32_e32 0, v118
	s_cbranch_execz .LBB2_1105
; %bb.1098:                             ;   in Loop: Header=BB2_979 Depth=2
	v_bfe_u32 v47, v118, 23, 8
	v_or_b32_e32 v40, 0x800000, v64
	s_delay_alu instid0(VALU_DEP_2) | instskip(SKIP_1) | instid1(VALU_DEP_2)
	v_sub_nc_u32_e32 v118, 0x71, v47
	v_cmp_gt_u32_e32 vcc_lo, 0x72, v47
	v_cndmask_b32_e32 v118, 0, v118, vcc_lo
	v_cmp_eq_u32_e32 vcc_lo, 0, v47
	s_delay_alu instid0(VALU_DEP_2) | instskip(NEXT) | instid1(VALU_DEP_1)
	v_cndmask_b32_e64 v63, v118, 0x70, vcc_lo
	v_dual_cndmask_b32 v64, v40, v64, vcc_lo :: v_dual_add_nc_u32 v118, 21, v63
	v_add_nc_u32_e32 v41, 20, v63
	s_delay_alu instid0(VALU_DEP_2) | instskip(NEXT) | instid1(VALU_DEP_2)
	v_lshlrev_b64_e64 v[118:119], v118, -1
	v_lshlrev_b64_e64 v[40:41], v41, 1
	s_delay_alu instid0(VALU_DEP_2) | instskip(NEXT) | instid1(VALU_DEP_3)
	v_bfi_b32 v73, v119, 0, 0
	v_bfi_b32 v72, v118, 0, v64
	v_lshrrev_b64 v[118:119], v63, v[64:65]
	s_delay_alu instid0(VALU_DEP_2) | instskip(NEXT) | instid1(VALU_DEP_2)
	v_cmp_eq_u64_e64 s7, v[72:73], v[40:41]
	v_mov_b64_e32 v[40:41], v[118:119]
	s_and_saveexec_b32 s22, s7
; %bb.1099:                             ;   in Loop: Header=BB2_979 Depth=2
	v_bfe_u32 v64, v118, 21, 1
	s_delay_alu instid0(VALU_DEP_1) | instskip(NEXT) | instid1(VALU_DEP_1)
	v_add_nc_u64_e32 v[40:41], v[118:119], v[64:65]
	v_add_nc_u64_e32 v[40:41], -1, v[40:41]
; %bb.1100:                             ;   in Loop: Header=BB2_979 Depth=2
	s_or_b32 exec_lo, exec_lo, s22
	v_add_nc_u32_e32 v64, 0xffffff81, v47
	v_lshrrev_b32_e32 v119, 23, v118
	s_mov_b32 s7, exec_lo
	s_delay_alu instid0(VALU_DEP_2) | instskip(NEXT) | instid1(VALU_DEP_1)
	v_cndmask_b32_e64 v64, v64, 0xffffff82, vcc_lo
	v_add3_u32 v41, v63, v64, v119
	v_and_b32_e32 v64, 0x1fffff, v40
                                        ; implicit-def: $vgpr40
	s_delay_alu instid0(VALU_DEP_1) | instskip(NEXT) | instid1(VALU_DEP_1)
	v_dual_add_nc_u32 v47, 14, v41 :: v_dual_add_nc_u32 v64, v64, v118
                                        ; implicit-def: $vgpr118_vgpr119
	v_cmpx_ne_u32_e32 0, v47
	s_xor_b32 s7, exec_lo, s7
; %bb.1101:                             ;   in Loop: Header=BB2_979 Depth=2
	s_delay_alu instid0(VALU_DEP_2) | instskip(SKIP_1) | instid1(VALU_DEP_1)
	v_cmp_lt_u64_e32 vcc_lo, 0xffffff, v[64:65]
	v_add_nc_u32_e32 v118, 15, v41
	v_cndmask_b32_e32 v40, v47, v118, vcc_lo
	v_cndmask_b32_e64 v118, 0, 1, vcc_lo
	s_delay_alu instid0(VALU_DEP_1)
	v_lshrrev_b64 v[118:119], v118, v[64:65]
; %bb.1102:                             ;   in Loop: Header=BB2_979 Depth=2
	s_and_not1_saveexec_b32 s7, s7
; %bb.1103:                             ;   in Loop: Header=BB2_979 Depth=2
	v_mov_b64_e32 v[118:119], v[64:65]
	v_bfe_u32 v40, v64, 23, 1
; %bb.1104:                             ;   in Loop: Header=BB2_979 Depth=2
	s_or_b32 exec_lo, exec_lo, s7
	s_delay_alu instid0(VALU_DEP_2) | instskip(NEXT) | instid1(VALU_DEP_2)
	v_lshrrev_b64 v[118:119], 21, v[118:119]
	v_cmp_gt_i32_e32 vcc_lo, 32, v40
	v_min_i32_e32 v64, 31, v40
	v_cmp_eq_u32_e64 s7, 0, v40
	s_delay_alu instid0(VALU_DEP_2) | instskip(SKIP_1) | instid1(VALU_DEP_2)
	v_dual_cndmask_b32 v119, 0, v119 :: v_dual_lshlrev_b32 v64, 2, v64
	v_cndmask_b32_e32 v118, 3, v118, vcc_lo
	v_and_b32_e32 v64, 0xfc, v64
	s_delay_alu instid0(VALU_DEP_2) | instskip(NEXT) | instid1(VALU_DEP_2)
	v_cmp_eq_u64_e32 vcc_lo, 0, v[118:119]
	v_and_or_b32 v64, v118, 3, v64
	s_and_b32 s7, s7, vcc_lo
	s_delay_alu instid0(VALU_DEP_1) | instid1(SALU_CYCLE_1)
	v_cndmask_b32_e64 v64, v64, 0, s7
	s_delay_alu instid0(VALU_DEP_1)
	v_or_b32_e32 v63, v64, v30
.LBB2_1105:                             ;   in Loop: Header=BB2_979 Depth=2
	s_or_b32 exec_lo, exec_lo, s21
                                        ; implicit-def: $vgpr30
.LBB2_1106:                             ;   in Loop: Header=BB2_979 Depth=2
	s_and_not1_saveexec_b32 s7, s20
; %bb.1107:                             ;   in Loop: Header=BB2_979 Depth=2
	v_or_b32_e32 v63, 0x7b, v30
; %bb.1108:                             ;   in Loop: Header=BB2_979 Depth=2
	s_or_b32 exec_lo, exec_lo, s7
                                        ; implicit-def: $vgpr118
                                        ; implicit-def: $vgpr30
.LBB2_1109:                             ;   in Loop: Header=BB2_979 Depth=2
	s_and_not1_saveexec_b32 s7, s19
	s_cbranch_execz .LBB2_1115
; %bb.1110:                             ;   in Loop: Header=BB2_979 Depth=2
	s_mov_b32 s19, exec_lo
                                        ; implicit-def: $vgpr63
	v_cmpx_ne_u64_e32 0, v[64:65]
	s_xor_b32 s19, exec_lo, s19
; %bb.1111:                             ;   in Loop: Header=BB2_979 Depth=2
	v_or_b32_e32 v63, 0x7f, v30
                                        ; implicit-def: $vgpr118
; %bb.1112:                             ;   in Loop: Header=BB2_979 Depth=2
	s_and_not1_saveexec_b32 s19, s19
; %bb.1113:                             ;   in Loop: Header=BB2_979 Depth=2
	v_cmp_lt_i32_e32 vcc_lo, -1, v118
	v_cndmask_b32_e32 v63, 0xfc, v59, vcc_lo
; %bb.1114:                             ;   in Loop: Header=BB2_979 Depth=2
	s_or_b32 exec_lo, exec_lo, s19
.LBB2_1115:                             ;   in Loop: Header=BB2_979 Depth=2
	s_delay_alu instid0(SALU_CYCLE_1) | instskip(SKIP_1) | instid1(VALU_DEP_1)
	s_or_b32 exec_lo, exec_lo, s7
	v_alignbit_b32 v64, v43, v45, v46
	v_and_b32_e32 v30, 0xff, v64
	s_delay_alu instid0(VALU_DEP_1)
	v_cmp_ne_u16_e32 vcc_lo, 0, v30
	v_mov_b32_e32 v30, 0
	s_and_saveexec_b32 s7, vcc_lo
	s_cbranch_execz .LBB2_1125
; %bb.1116:                             ;   in Loop: Header=BB2_979 Depth=2
	v_bfe_i32 v119, v64, 0, 8
	v_bfrev_b32_e32 v30, 1
	s_mov_b32 s19, exec_lo
	s_delay_alu instid0(VALU_DEP_2)
	v_cmpx_ne_u16_e32 0xff80, v119
	s_cbranch_execz .LBB2_1124
; %bb.1117:                             ;   in Loop: Header=BB2_979 Depth=2
	v_and_b32_e32 v30, 0x7c, v64
	v_and_b32_e32 v118, 3, v64
	s_delay_alu instid0(VALU_DEP_2) | instskip(SKIP_1) | instid1(SALU_CYCLE_1)
	v_cmp_ne_u32_e32 vcc_lo, 0x7c, v30
                                        ; implicit-def: $vgpr30
	s_and_saveexec_b32 s20, vcc_lo
	s_xor_b32 s20, exec_lo, s20
	s_cbranch_execz .LBB2_1121
; %bb.1118:                             ;   in Loop: Header=BB2_979 Depth=2
	v_bfe_u32 v30, v64, 2, 5
	s_mov_b32 s21, exec_lo
	s_delay_alu instid0(VALU_DEP_1)
	v_cmpx_eq_u32_e32 0, v30
; %bb.1119:                             ;   in Loop: Header=BB2_979 Depth=2
	v_clz_i32_u32_e32 v30, v118
	s_delay_alu instid0(VALU_DEP_1) | instskip(NEXT) | instid1(VALU_DEP_1)
	v_min_u32_e32 v30, 32, v30
	v_subrev_nc_u32_e32 v118, 29, v30
	v_sub_nc_u32_e32 v30, 30, v30
	s_delay_alu instid0(VALU_DEP_2) | instskip(NEXT) | instid1(VALU_DEP_1)
	v_lshlrev_b64_e32 v[118:119], v118, v[64:65]
	v_and_b32_e32 v118, 3, v118
; %bb.1120:                             ;   in Loop: Header=BB2_979 Depth=2
	s_or_b32 exec_lo, exec_lo, s21
	v_lshlrev_b32_e32 v119, 24, v64
	s_delay_alu instid0(VALU_DEP_1) | instskip(NEXT) | instid1(VALU_DEP_1)
	v_and_b32_e32 v119, 0x80000000, v119
	v_lshl_add_u32 v30, v30, 23, v119
                                        ; implicit-def: $vgpr119
	s_delay_alu instid0(VALU_DEP_1) | instskip(NEXT) | instid1(VALU_DEP_1)
	v_lshl_or_b32 v30, v118, 21, v30
                                        ; implicit-def: $vgpr118
	v_add_nc_u32_e32 v30, 0x38000000, v30
.LBB2_1121:                             ;   in Loop: Header=BB2_979 Depth=2
	s_and_not1_saveexec_b32 s20, s20
; %bb.1122:                             ;   in Loop: Header=BB2_979 Depth=2
	v_cmp_lt_i16_e32 vcc_lo, -1, v119
	v_cndmask_b32_e32 v30, 0xff800000, v21, vcc_lo
	v_cmp_eq_u32_e32 vcc_lo, 0, v118
	s_delay_alu instid0(VALU_DEP_2)
	v_cndmask_b32_e32 v30, 0x7f800001, v30, vcc_lo
; %bb.1123:                             ;   in Loop: Header=BB2_979 Depth=2
	s_or_b32 exec_lo, exec_lo, s20
.LBB2_1124:                             ;   in Loop: Header=BB2_979 Depth=2
	s_delay_alu instid0(SALU_CYCLE_1)
	s_or_b32 exec_lo, exec_lo, s19
.LBB2_1125:                             ;   in Loop: Header=BB2_979 Depth=2
	s_delay_alu instid0(SALU_CYCLE_1) | instskip(NEXT) | instid1(VALU_DEP_1)
	s_or_b32 exec_lo, exec_lo, s7
	v_dual_mul_f32 v40, v56, v30 :: v_dual_mov_b32 v47, v65
	v_mov_b32_e32 v119, v65
                                        ; implicit-def: $vgpr43
	s_mov_b32 s7, exec_lo
	s_delay_alu instid0(VALU_DEP_2) | instskip(SKIP_2) | instid1(VALU_DEP_3)
	v_and_b32_e32 v46, 0x7f800000, v40
	v_and_b32_e32 v118, 0x7fffff, v40
	v_lshrrev_b32_e32 v30, 24, v40
	v_cmpx_ne_u64_e32 0x7f800000, v[46:47]
	s_xor_b32 s19, exec_lo, s7
	s_cbranch_execz .LBB2_1139
; %bb.1126:                             ;   in Loop: Header=BB2_979 Depth=2
	v_and_b32_e32 v46, 0x7fffffff, v40
	v_mov_b32_e32 v47, v65
	v_and_b32_e32 v30, 0x80, v30
                                        ; implicit-def: $vgpr43
	s_mov_b32 s7, exec_lo
	s_delay_alu instid0(VALU_DEP_2)
	v_cmpx_gt_u64_e32 0x47600001, v[46:47]
	s_xor_b32 s20, exec_lo, s7
	s_cbranch_execz .LBB2_1136
; %bb.1127:                             ;   in Loop: Header=BB2_979 Depth=2
	v_mov_b32_e32 v43, 0
	s_mov_b32 s21, exec_lo
	v_cmpx_ne_u32_e32 0, v40
	s_cbranch_execz .LBB2_1135
; %bb.1128:                             ;   in Loop: Header=BB2_979 Depth=2
	v_bfe_u32 v43, v40, 23, 8
	v_or_b32_e32 v46, 0x800000, v118
	s_delay_alu instid0(VALU_DEP_2) | instskip(SKIP_1) | instid1(VALU_DEP_2)
	v_sub_nc_u32_e32 v40, 0x71, v43
	v_cmp_gt_u32_e32 vcc_lo, 0x72, v43
	v_cndmask_b32_e32 v40, 0, v40, vcc_lo
	v_cmp_eq_u32_e32 vcc_lo, 0, v43
	s_delay_alu instid0(VALU_DEP_2) | instskip(NEXT) | instid1(VALU_DEP_1)
	v_cndmask_b32_e64 v45, v40, 0x70, vcc_lo
	v_dual_cndmask_b32 v118, v46, v118, vcc_lo :: v_dual_add_nc_u32 v40, 21, v45
	v_add_nc_u32_e32 v47, 20, v45
	s_delay_alu instid0(VALU_DEP_2) | instskip(NEXT) | instid1(VALU_DEP_2)
	v_lshlrev_b64_e64 v[40:41], v40, -1
	v_lshlrev_b64_e64 v[46:47], v47, 1
	s_delay_alu instid0(VALU_DEP_2) | instskip(SKIP_1) | instid1(VALU_DEP_4)
	v_bfi_b32 v40, v40, 0, v118
	v_lshrrev_b64 v[118:119], v45, v[118:119]
	v_bfi_b32 v41, v41, 0, 0
	s_delay_alu instid0(VALU_DEP_1) | instskip(NEXT) | instid1(VALU_DEP_3)
	v_cmp_eq_u64_e64 s7, v[40:41], v[46:47]
	v_mov_b64_e32 v[40:41], v[118:119]
	s_and_saveexec_b32 s22, s7
; %bb.1129:                             ;   in Loop: Header=BB2_979 Depth=2
	v_bfe_u32 v40, v118, 21, 1
	v_mov_b32_e32 v41, v65
	s_delay_alu instid0(VALU_DEP_1) | instskip(NEXT) | instid1(VALU_DEP_1)
	v_add_nc_u64_e32 v[40:41], v[118:119], v[40:41]
	v_add_nc_u64_e32 v[40:41], -1, v[40:41]
; %bb.1130:                             ;   in Loop: Header=BB2_979 Depth=2
	s_or_b32 exec_lo, exec_lo, s22
	v_add_nc_u32_e32 v119, 0xffffff81, v43
	v_lshrrev_b32_e32 v41, 23, v118
	s_mov_b32 s7, exec_lo
	s_delay_alu instid0(VALU_DEP_2) | instskip(NEXT) | instid1(VALU_DEP_1)
	v_cndmask_b32_e64 v119, v119, 0xffffff82, vcc_lo
	v_add3_u32 v41, v45, v119, v41
	v_and_b32_e32 v119, 0x1fffff, v40
                                        ; implicit-def: $vgpr40
	s_delay_alu instid0(VALU_DEP_1) | instskip(SKIP_1) | instid1(VALU_DEP_2)
	v_dual_add_nc_u32 v43, 14, v41 :: v_dual_add_nc_u32 v118, v119, v118
	v_mov_b32_e32 v119, v65
	v_cmpx_ne_u32_e32 0, v43
	s_xor_b32 s7, exec_lo, s7
; %bb.1131:                             ;   in Loop: Header=BB2_979 Depth=2
	s_delay_alu instid0(VALU_DEP_2) | instskip(SKIP_2) | instid1(VALU_DEP_2)
	v_cmp_lt_u64_e32 vcc_lo, 0xffffff, v[118:119]
	v_add_nc_u32_e32 v40, 15, v41
	v_cndmask_b32_e64 v41, 0, 1, vcc_lo
	v_cndmask_b32_e32 v40, v43, v40, vcc_lo
	s_delay_alu instid0(VALU_DEP_2)
	v_lshrrev_b64 v[118:119], v41, v[118:119]
; %bb.1132:                             ;   in Loop: Header=BB2_979 Depth=2
	s_and_not1_saveexec_b32 s7, s7
; %bb.1133:                             ;   in Loop: Header=BB2_979 Depth=2
	s_delay_alu instid0(VALU_DEP_1)
	v_bfe_u32 v40, v118, 23, 1
; %bb.1134:                             ;   in Loop: Header=BB2_979 Depth=2
	s_or_b32 exec_lo, exec_lo, s7
	s_delay_alu instid0(VALU_DEP_2) | instskip(NEXT) | instid1(VALU_DEP_2)
	v_lshrrev_b64 v[118:119], 21, v[118:119]
	v_cmp_gt_i32_e32 vcc_lo, 32, v40
	v_min_i32_e32 v41, 31, v40
	v_cmp_eq_u32_e64 s7, 0, v40
	s_delay_alu instid0(VALU_DEP_2) | instskip(SKIP_1) | instid1(VALU_DEP_2)
	v_dual_cndmask_b32 v119, 0, v119, vcc_lo :: v_dual_lshlrev_b32 v41, 2, v41
	v_cndmask_b32_e32 v118, 3, v118, vcc_lo
	v_and_b32_e32 v41, 0xfc, v41
	s_delay_alu instid0(VALU_DEP_2) | instskip(NEXT) | instid1(VALU_DEP_2)
	v_cmp_eq_u64_e32 vcc_lo, 0, v[118:119]
	v_and_or_b32 v118, v118, 3, v41
	s_and_b32 s7, s7, vcc_lo
	s_delay_alu instid0(VALU_DEP_1) | instid1(SALU_CYCLE_1)
	v_cndmask_b32_e64 v118, v118, 0, s7
	s_delay_alu instid0(VALU_DEP_1)
	v_or_b32_e32 v43, v118, v30
.LBB2_1135:                             ;   in Loop: Header=BB2_979 Depth=2
	s_or_b32 exec_lo, exec_lo, s21
                                        ; implicit-def: $vgpr30
.LBB2_1136:                             ;   in Loop: Header=BB2_979 Depth=2
	s_and_not1_saveexec_b32 s7, s20
; %bb.1137:                             ;   in Loop: Header=BB2_979 Depth=2
	v_or_b32_e32 v43, 0x7b, v30
; %bb.1138:                             ;   in Loop: Header=BB2_979 Depth=2
	s_or_b32 exec_lo, exec_lo, s7
                                        ; implicit-def: $vgpr40
                                        ; implicit-def: $vgpr118_vgpr119
                                        ; implicit-def: $vgpr30
.LBB2_1139:                             ;   in Loop: Header=BB2_979 Depth=2
	s_and_not1_saveexec_b32 s7, s19
	s_cbranch_execz .LBB2_1145
; %bb.1140:                             ;   in Loop: Header=BB2_979 Depth=2
	s_mov_b32 s19, exec_lo
                                        ; implicit-def: $vgpr43
	v_cmpx_ne_u64_e32 0, v[118:119]
	s_xor_b32 s19, exec_lo, s19
; %bb.1141:                             ;   in Loop: Header=BB2_979 Depth=2
	v_or_b32_e32 v43, 0x7f, v30
                                        ; implicit-def: $vgpr40
; %bb.1142:                             ;   in Loop: Header=BB2_979 Depth=2
	s_and_not1_saveexec_b32 s19, s19
; %bb.1143:                             ;   in Loop: Header=BB2_979 Depth=2
	v_cmp_lt_i32_e32 vcc_lo, -1, v40
	v_cndmask_b32_e32 v43, 0xfc, v59, vcc_lo
; %bb.1144:                             ;   in Loop: Header=BB2_979 Depth=2
	s_or_b32 exec_lo, exec_lo, s19
.LBB2_1145:                             ;   in Loop: Header=BB2_979 Depth=2
	s_delay_alu instid0(SALU_CYCLE_1) | instskip(SKIP_3) | instid1(VALU_DEP_2)
	s_or_b32 exec_lo, exec_lo, s7
	v_lshrrev_b16 v118, 8, v64
	v_mov_b32_e32 v119, 0
	s_mov_b32 s7, exec_lo
	v_cmpx_ne_u16_e32 0, v118
	s_cbranch_execz .LBB2_1155
; %bb.1146:                             ;   in Loop: Header=BB2_979 Depth=2
	v_bfrev_b32_e32 v119, 1
	s_mov_b32 s19, exec_lo
	v_cmpx_ne_u16_e32 0x80, v118
	s_cbranch_execz .LBB2_1154
; %bb.1147:                             ;   in Loop: Header=BB2_979 Depth=2
	v_and_b32_e32 v40, 0xffff, v118
	s_delay_alu instid0(VALU_DEP_1) | instskip(SKIP_1) | instid1(VALU_DEP_2)
	v_and_b32_e32 v119, 0x7c, v40
	v_and_b32_e32 v30, 3, v40
	v_cmp_ne_u32_e32 vcc_lo, 0x7c, v119
                                        ; implicit-def: $vgpr119
	s_and_saveexec_b32 s20, vcc_lo
	s_delay_alu instid0(SALU_CYCLE_1)
	s_xor_b32 s20, exec_lo, s20
	s_cbranch_execz .LBB2_1151
; %bb.1148:                             ;   in Loop: Header=BB2_979 Depth=2
	v_bfe_u32 v119, v40, 2, 5
	s_mov_b32 s21, exec_lo
	s_delay_alu instid0(VALU_DEP_1)
	v_cmpx_eq_u32_e32 0, v119
	s_cbranch_execz .LBB2_1150
; %bb.1149:                             ;   in Loop: Header=BB2_979 Depth=2
	v_clz_i32_u32_e32 v30, v30
	v_mov_b32_e32 v119, v65
	s_delay_alu instid0(VALU_DEP_2) | instskip(NEXT) | instid1(VALU_DEP_1)
	v_min_u32_e32 v30, 32, v30
	v_subrev_nc_u32_e32 v40, 29, v30
	s_delay_alu instid0(VALU_DEP_1) | instskip(SKIP_1) | instid1(VALU_DEP_2)
	v_lshlrev_b64_e32 v[118:119], v40, v[118:119]
	v_sub_nc_u32_e32 v119, 30, v30
	v_and_b32_e32 v30, 3, v118
.LBB2_1150:                             ;   in Loop: Header=BB2_979 Depth=2
	s_or_b32 exec_lo, exec_lo, s21
	v_lshlrev_b32_e32 v118, 16, v64
	s_delay_alu instid0(VALU_DEP_1) | instskip(NEXT) | instid1(VALU_DEP_1)
	v_and_b32_e32 v118, 0x80000000, v118
	v_lshl_add_u32 v118, v119, 23, v118
	s_delay_alu instid0(VALU_DEP_1) | instskip(NEXT) | instid1(VALU_DEP_1)
	v_lshl_or_b32 v30, v30, 21, v118
	v_add_nc_u32_e32 v119, 0x38000000, v30
                                        ; implicit-def: $vgpr30
.LBB2_1151:                             ;   in Loop: Header=BB2_979 Depth=2
	s_and_not1_saveexec_b32 s20, s20
; %bb.1152:                             ;   in Loop: Header=BB2_979 Depth=2
	v_cmp_lt_i16_e32 vcc_lo, -1, v64
	v_cndmask_b32_e32 v118, 0xff800000, v21, vcc_lo
	v_cmp_eq_u32_e32 vcc_lo, 0, v30
	s_delay_alu instid0(VALU_DEP_2)
	v_cndmask_b32_e32 v119, 0x7f800001, v118, vcc_lo
; %bb.1153:                             ;   in Loop: Header=BB2_979 Depth=2
	s_or_b32 exec_lo, exec_lo, s20
.LBB2_1154:                             ;   in Loop: Header=BB2_979 Depth=2
	s_delay_alu instid0(SALU_CYCLE_1)
	s_or_b32 exec_lo, exec_lo, s19
.LBB2_1155:                             ;   in Loop: Header=BB2_979 Depth=2
	s_delay_alu instid0(SALU_CYCLE_1) | instskip(NEXT) | instid1(VALU_DEP_1)
	s_or_b32 exec_lo, exec_lo, s7
	v_dual_mul_f32 v40, v56, v119 :: v_dual_mov_b32 v47, v65
	v_mov_b32_e32 v119, v65
                                        ; implicit-def: $vgpr45
	s_mov_b32 s7, exec_lo
	s_delay_alu instid0(VALU_DEP_2) | instskip(SKIP_2) | instid1(VALU_DEP_3)
	v_and_b32_e32 v46, 0x7f800000, v40
	v_and_b32_e32 v118, 0x7fffff, v40
	v_lshrrev_b32_e32 v30, 24, v40
	v_cmpx_ne_u64_e32 0x7f800000, v[46:47]
	s_xor_b32 s19, exec_lo, s7
	s_cbranch_execz .LBB2_1169
; %bb.1156:                             ;   in Loop: Header=BB2_979 Depth=2
	v_and_b32_e32 v46, 0x7fffffff, v40
	v_mov_b32_e32 v47, v65
	v_and_b32_e32 v30, 0x80, v30
                                        ; implicit-def: $vgpr45
	s_mov_b32 s7, exec_lo
	s_delay_alu instid0(VALU_DEP_2)
	v_cmpx_gt_u64_e32 0x47600001, v[46:47]
	s_xor_b32 s20, exec_lo, s7
	s_cbranch_execz .LBB2_1166
; %bb.1157:                             ;   in Loop: Header=BB2_979 Depth=2
	v_mov_b32_e32 v45, 0
	s_mov_b32 s21, exec_lo
	v_cmpx_ne_u32_e32 0, v40
	s_cbranch_execz .LBB2_1165
; %bb.1158:                             ;   in Loop: Header=BB2_979 Depth=2
	v_bfe_u32 v45, v40, 23, 8
	v_or_b32_e32 v47, 0x800000, v118
	s_delay_alu instid0(VALU_DEP_2) | instskip(SKIP_1) | instid1(VALU_DEP_2)
	v_sub_nc_u32_e32 v40, 0x71, v45
	v_cmp_gt_u32_e32 vcc_lo, 0x72, v45
	v_cndmask_b32_e32 v40, 0, v40, vcc_lo
	v_cmp_eq_u32_e32 vcc_lo, 0, v45
	s_delay_alu instid0(VALU_DEP_2) | instskip(SKIP_1) | instid1(VALU_DEP_2)
	v_cndmask_b32_e64 v46, v40, 0x70, vcc_lo
	v_cndmask_b32_e32 v118, v47, v118, vcc_lo
	v_dual_add_nc_u32 v40, 21, v46 :: v_dual_add_nc_u32 v72, 20, v46
	s_delay_alu instid0(VALU_DEP_1) | instskip(NEXT) | instid1(VALU_DEP_2)
	v_lshlrev_b64_e64 v[40:41], v40, -1
	v_lshlrev_b64_e64 v[72:73], v72, 1
	s_delay_alu instid0(VALU_DEP_2) | instskip(SKIP_1) | instid1(VALU_DEP_4)
	v_bfi_b32 v40, v40, 0, v118
	v_lshrrev_b64 v[118:119], v46, v[118:119]
	v_bfi_b32 v41, v41, 0, 0
	s_delay_alu instid0(VALU_DEP_1) | instskip(NEXT) | instid1(VALU_DEP_3)
	v_cmp_eq_u64_e64 s7, v[40:41], v[72:73]
	v_mov_b64_e32 v[40:41], v[118:119]
	s_and_saveexec_b32 s22, s7
; %bb.1159:                             ;   in Loop: Header=BB2_979 Depth=2
	v_bfe_u32 v40, v118, 21, 1
	v_mov_b32_e32 v41, v65
	s_delay_alu instid0(VALU_DEP_1) | instskip(NEXT) | instid1(VALU_DEP_1)
	v_add_nc_u64_e32 v[40:41], v[118:119], v[40:41]
	v_add_nc_u64_e32 v[40:41], -1, v[40:41]
; %bb.1160:                             ;   in Loop: Header=BB2_979 Depth=2
	s_or_b32 exec_lo, exec_lo, s22
	v_add_nc_u32_e32 v119, 0xffffff81, v45
	v_lshrrev_b32_e32 v41, 23, v118
	s_mov_b32 s7, exec_lo
	s_delay_alu instid0(VALU_DEP_2) | instskip(NEXT) | instid1(VALU_DEP_1)
	v_cndmask_b32_e64 v119, v119, 0xffffff82, vcc_lo
	v_add3_u32 v41, v46, v119, v41
	v_and_b32_e32 v119, 0x1fffff, v40
                                        ; implicit-def: $vgpr40
	s_delay_alu instid0(VALU_DEP_1) | instskip(SKIP_1) | instid1(VALU_DEP_2)
	v_dual_add_nc_u32 v45, 14, v41 :: v_dual_add_nc_u32 v118, v119, v118
	v_mov_b32_e32 v119, v65
	v_cmpx_ne_u32_e32 0, v45
	s_xor_b32 s7, exec_lo, s7
; %bb.1161:                             ;   in Loop: Header=BB2_979 Depth=2
	s_delay_alu instid0(VALU_DEP_2) | instskip(SKIP_2) | instid1(VALU_DEP_2)
	v_cmp_lt_u64_e32 vcc_lo, 0xffffff, v[118:119]
	v_add_nc_u32_e32 v40, 15, v41
	v_cndmask_b32_e64 v41, 0, 1, vcc_lo
	v_cndmask_b32_e32 v40, v45, v40, vcc_lo
	s_delay_alu instid0(VALU_DEP_2)
	v_lshrrev_b64 v[118:119], v41, v[118:119]
; %bb.1162:                             ;   in Loop: Header=BB2_979 Depth=2
	s_and_not1_saveexec_b32 s7, s7
; %bb.1163:                             ;   in Loop: Header=BB2_979 Depth=2
	s_delay_alu instid0(VALU_DEP_1)
	v_bfe_u32 v40, v118, 23, 1
; %bb.1164:                             ;   in Loop: Header=BB2_979 Depth=2
	s_or_b32 exec_lo, exec_lo, s7
	s_delay_alu instid0(VALU_DEP_2) | instskip(NEXT) | instid1(VALU_DEP_2)
	v_lshrrev_b64 v[118:119], 21, v[118:119]
	v_cmp_gt_i32_e32 vcc_lo, 32, v40
	v_min_i32_e32 v41, 31, v40
	v_cmp_eq_u32_e64 s7, 0, v40
	s_delay_alu instid0(VALU_DEP_2) | instskip(SKIP_1) | instid1(VALU_DEP_2)
	v_dual_cndmask_b32 v119, 0, v119, vcc_lo :: v_dual_lshlrev_b32 v41, 2, v41
	v_cndmask_b32_e32 v118, 3, v118, vcc_lo
	v_and_b32_e32 v41, 0xfc, v41
	s_delay_alu instid0(VALU_DEP_2) | instskip(NEXT) | instid1(VALU_DEP_2)
	v_cmp_eq_u64_e32 vcc_lo, 0, v[118:119]
	v_and_or_b32 v118, v118, 3, v41
	s_and_b32 s7, s7, vcc_lo
	s_delay_alu instid0(VALU_DEP_1) | instid1(SALU_CYCLE_1)
	v_cndmask_b32_e64 v118, v118, 0, s7
	s_delay_alu instid0(VALU_DEP_1)
	v_or_b32_e32 v45, v118, v30
.LBB2_1165:                             ;   in Loop: Header=BB2_979 Depth=2
	s_or_b32 exec_lo, exec_lo, s21
                                        ; implicit-def: $vgpr30
.LBB2_1166:                             ;   in Loop: Header=BB2_979 Depth=2
	s_and_not1_saveexec_b32 s7, s20
; %bb.1167:                             ;   in Loop: Header=BB2_979 Depth=2
	v_or_b32_e32 v45, 0x7b, v30
; %bb.1168:                             ;   in Loop: Header=BB2_979 Depth=2
	s_or_b32 exec_lo, exec_lo, s7
                                        ; implicit-def: $vgpr40
                                        ; implicit-def: $vgpr118_vgpr119
                                        ; implicit-def: $vgpr30
.LBB2_1169:                             ;   in Loop: Header=BB2_979 Depth=2
	s_and_not1_saveexec_b32 s7, s19
	s_cbranch_execz .LBB2_1175
; %bb.1170:                             ;   in Loop: Header=BB2_979 Depth=2
	s_mov_b32 s19, exec_lo
                                        ; implicit-def: $vgpr45
	v_cmpx_ne_u64_e32 0, v[118:119]
	s_xor_b32 s19, exec_lo, s19
; %bb.1171:                             ;   in Loop: Header=BB2_979 Depth=2
	v_or_b32_e32 v45, 0x7f, v30
                                        ; implicit-def: $vgpr40
; %bb.1172:                             ;   in Loop: Header=BB2_979 Depth=2
	s_and_not1_saveexec_b32 s19, s19
; %bb.1173:                             ;   in Loop: Header=BB2_979 Depth=2
	v_cmp_lt_i32_e32 vcc_lo, -1, v40
	v_cndmask_b32_e32 v45, 0xfc, v59, vcc_lo
; %bb.1174:                             ;   in Loop: Header=BB2_979 Depth=2
	s_or_b32 exec_lo, exec_lo, s19
.LBB2_1175:                             ;   in Loop: Header=BB2_979 Depth=2
	s_delay_alu instid0(SALU_CYCLE_1) | instskip(SKIP_2) | instid1(VALU_DEP_1)
	s_or_b32 exec_lo, exec_lo, s7
	v_dual_lshrrev_b32 v30, 16, v64 :: v_dual_mov_b32 v118, 0
	s_mov_b32 s7, exec_lo
	v_and_b32_e32 v119, 0xff, v30
	s_delay_alu instid0(VALU_DEP_1)
	v_cmpx_ne_u16_e32 0, v119
	s_cbranch_execz .LBB2_1185
; %bb.1176:                             ;   in Loop: Header=BB2_979 Depth=2
	v_bfrev_b32_e32 v118, 1
	s_mov_b32 s19, exec_lo
	v_cmpx_ne_u16_e32 0x80, v119
	s_cbranch_execz .LBB2_1184
; %bb.1177:                             ;   in Loop: Header=BB2_979 Depth=2
	v_and_b32_e32 v118, 0x7c0000, v64
	v_bfe_u32 v119, v64, 16, 2
	s_delay_alu instid0(VALU_DEP_2) | instskip(SKIP_1) | instid1(SALU_CYCLE_1)
	v_cmp_ne_u32_e32 vcc_lo, 0x7c0000, v118
                                        ; implicit-def: $vgpr118
	s_and_saveexec_b32 s20, vcc_lo
	s_xor_b32 s20, exec_lo, s20
	s_cbranch_execz .LBB2_1181
; %bb.1178:                             ;   in Loop: Header=BB2_979 Depth=2
	v_bfe_u32 v118, v64, 18, 5
	s_mov_b32 s21, exec_lo
	s_delay_alu instid0(VALU_DEP_1)
	v_cmpx_eq_u32_e32 0, v118
; %bb.1179:                             ;   in Loop: Header=BB2_979 Depth=2
	v_clz_i32_u32_e32 v118, v119
	s_delay_alu instid0(VALU_DEP_1) | instskip(NEXT) | instid1(VALU_DEP_1)
	v_min_u32_e32 v118, 32, v118
	v_subrev_nc_u32_e32 v119, 29, v118
	s_delay_alu instid0(VALU_DEP_1) | instskip(NEXT) | instid1(VALU_DEP_1)
	v_lshlrev_b64_e32 v[40:41], v119, v[30:31]
	v_dual_sub_nc_u32 v118, 30, v118 :: v_dual_bitop2_b32 v119, 3, v40 bitop3:0x40
; %bb.1180:                             ;   in Loop: Header=BB2_979 Depth=2
	s_or_b32 exec_lo, exec_lo, s21
	v_lshlrev_b32_e32 v30, 24, v30
	s_delay_alu instid0(VALU_DEP_1) | instskip(NEXT) | instid1(VALU_DEP_1)
	v_and_b32_e32 v30, 0x80000000, v30
	v_lshl_add_u32 v30, v118, 23, v30
	s_delay_alu instid0(VALU_DEP_1) | instskip(NEXT) | instid1(VALU_DEP_1)
	v_lshl_or_b32 v30, v119, 21, v30
                                        ; implicit-def: $vgpr119
	v_add_nc_u32_e32 v118, 0x38000000, v30
                                        ; implicit-def: $vgpr30
.LBB2_1181:                             ;   in Loop: Header=BB2_979 Depth=2
	s_and_not1_saveexec_b32 s20, s20
; %bb.1182:                             ;   in Loop: Header=BB2_979 Depth=2
	v_bfe_i32 v30, v30, 0, 8
	s_delay_alu instid0(VALU_DEP_1) | instskip(SKIP_2) | instid1(VALU_DEP_2)
	v_cmp_lt_i16_e32 vcc_lo, -1, v30
	v_cndmask_b32_e32 v30, 0xff800000, v21, vcc_lo
	v_cmp_eq_u32_e32 vcc_lo, 0, v119
	v_cndmask_b32_e32 v118, 0x7f800001, v30, vcc_lo
; %bb.1183:                             ;   in Loop: Header=BB2_979 Depth=2
	s_or_b32 exec_lo, exec_lo, s20
.LBB2_1184:                             ;   in Loop: Header=BB2_979 Depth=2
	s_delay_alu instid0(SALU_CYCLE_1)
	s_or_b32 exec_lo, exec_lo, s19
.LBB2_1185:                             ;   in Loop: Header=BB2_979 Depth=2
	s_delay_alu instid0(SALU_CYCLE_1) | instskip(NEXT) | instid1(VALU_DEP_1)
	s_or_b32 exec_lo, exec_lo, s7
	v_dual_mul_f32 v40, v56, v118 :: v_dual_mov_b32 v47, v65
	s_delay_alu instid0(VALU_DEP_1) | instskip(SKIP_2) | instid1(VALU_DEP_2)
	v_dual_mov_b32 v119, v65 :: v_dual_lshrrev_b32 v30, 24, v40
	v_and_b32_e32 v46, 0x7f800000, v40
	v_and_b32_e32 v118, 0x7fffff, v40
	v_cmp_ne_u64_e32 vcc_lo, 0x7f800000, v[46:47]
                                        ; implicit-def: $vgpr46
	s_and_saveexec_b32 s7, vcc_lo
	s_delay_alu instid0(SALU_CYCLE_1)
	s_xor_b32 s19, exec_lo, s7
	s_cbranch_execz .LBB2_1199
; %bb.1186:                             ;   in Loop: Header=BB2_979 Depth=2
	v_and_b32_e32 v46, 0x7fffffff, v40
	v_mov_b32_e32 v47, v65
	v_and_b32_e32 v30, 0x80, v30
	s_delay_alu instid0(VALU_DEP_2) | instskip(SKIP_1) | instid1(SALU_CYCLE_1)
	v_cmp_gt_u64_e32 vcc_lo, 0x47600001, v[46:47]
                                        ; implicit-def: $vgpr46
	s_and_saveexec_b32 s7, vcc_lo
	s_xor_b32 s20, exec_lo, s7
	s_cbranch_execz .LBB2_1196
; %bb.1187:                             ;   in Loop: Header=BB2_979 Depth=2
	v_mov_b32_e32 v46, 0
	s_mov_b32 s21, exec_lo
	v_cmpx_ne_u32_e32 0, v40
	s_cbranch_execz .LBB2_1195
; %bb.1188:                             ;   in Loop: Header=BB2_979 Depth=2
	v_bfe_u32 v46, v40, 23, 8
	v_or_b32_e32 v72, 0x800000, v118
	s_delay_alu instid0(VALU_DEP_2) | instskip(SKIP_1) | instid1(VALU_DEP_2)
	v_sub_nc_u32_e32 v40, 0x71, v46
	v_cmp_gt_u32_e32 vcc_lo, 0x72, v46
	v_cndmask_b32_e32 v40, 0, v40, vcc_lo
	v_cmp_eq_u32_e32 vcc_lo, 0, v46
	s_delay_alu instid0(VALU_DEP_2) | instskip(NEXT) | instid1(VALU_DEP_1)
	v_cndmask_b32_e64 v47, v40, 0x70, vcc_lo
	v_dual_cndmask_b32 v118, v72, v118, vcc_lo :: v_dual_add_nc_u32 v40, 21, v47
	v_add_nc_u32_e32 v73, 20, v47
	s_delay_alu instid0(VALU_DEP_2) | instskip(NEXT) | instid1(VALU_DEP_2)
	v_lshlrev_b64_e64 v[40:41], v40, -1
	v_lshlrev_b64_e64 v[72:73], v73, 1
	s_delay_alu instid0(VALU_DEP_2) | instskip(SKIP_1) | instid1(VALU_DEP_4)
	v_bfi_b32 v40, v40, 0, v118
	v_lshrrev_b64 v[118:119], v47, v[118:119]
	v_bfi_b32 v41, v41, 0, 0
	s_delay_alu instid0(VALU_DEP_1) | instskip(NEXT) | instid1(VALU_DEP_3)
	v_cmp_eq_u64_e64 s7, v[40:41], v[72:73]
	v_mov_b64_e32 v[40:41], v[118:119]
	s_and_saveexec_b32 s22, s7
; %bb.1189:                             ;   in Loop: Header=BB2_979 Depth=2
	v_bfe_u32 v40, v118, 21, 1
	v_mov_b32_e32 v41, v65
	s_delay_alu instid0(VALU_DEP_1) | instskip(NEXT) | instid1(VALU_DEP_1)
	v_add_nc_u64_e32 v[40:41], v[118:119], v[40:41]
	v_add_nc_u64_e32 v[40:41], -1, v[40:41]
; %bb.1190:                             ;   in Loop: Header=BB2_979 Depth=2
	s_or_b32 exec_lo, exec_lo, s22
	v_add_nc_u32_e32 v119, 0xffffff81, v46
	v_lshrrev_b32_e32 v41, 23, v118
	s_mov_b32 s7, exec_lo
	s_delay_alu instid0(VALU_DEP_2) | instskip(NEXT) | instid1(VALU_DEP_1)
	v_cndmask_b32_e64 v119, v119, 0xffffff82, vcc_lo
	v_add3_u32 v41, v47, v119, v41
	v_and_b32_e32 v119, 0x1fffff, v40
                                        ; implicit-def: $vgpr40
	s_delay_alu instid0(VALU_DEP_1) | instskip(SKIP_1) | instid1(VALU_DEP_2)
	v_dual_add_nc_u32 v46, 14, v41 :: v_dual_add_nc_u32 v118, v119, v118
	v_mov_b32_e32 v119, v65
	v_cmpx_ne_u32_e32 0, v46
	s_xor_b32 s7, exec_lo, s7
; %bb.1191:                             ;   in Loop: Header=BB2_979 Depth=2
	s_delay_alu instid0(VALU_DEP_2) | instskip(SKIP_2) | instid1(VALU_DEP_2)
	v_cmp_lt_u64_e32 vcc_lo, 0xffffff, v[118:119]
	v_add_nc_u32_e32 v40, 15, v41
	v_cndmask_b32_e64 v41, 0, 1, vcc_lo
	v_cndmask_b32_e32 v40, v46, v40, vcc_lo
	s_delay_alu instid0(VALU_DEP_2)
	v_lshrrev_b64 v[118:119], v41, v[118:119]
; %bb.1192:                             ;   in Loop: Header=BB2_979 Depth=2
	s_and_not1_saveexec_b32 s7, s7
; %bb.1193:                             ;   in Loop: Header=BB2_979 Depth=2
	s_delay_alu instid0(VALU_DEP_1)
	v_bfe_u32 v40, v118, 23, 1
; %bb.1194:                             ;   in Loop: Header=BB2_979 Depth=2
	s_or_b32 exec_lo, exec_lo, s7
	s_delay_alu instid0(VALU_DEP_2) | instskip(NEXT) | instid1(VALU_DEP_2)
	v_lshrrev_b64 v[118:119], 21, v[118:119]
	v_cmp_gt_i32_e32 vcc_lo, 32, v40
	v_min_i32_e32 v41, 31, v40
	v_cmp_eq_u32_e64 s7, 0, v40
	s_delay_alu instid0(VALU_DEP_2) | instskip(SKIP_1) | instid1(VALU_DEP_2)
	v_dual_cndmask_b32 v119, 0, v119, vcc_lo :: v_dual_lshlrev_b32 v41, 2, v41
	v_cndmask_b32_e32 v118, 3, v118, vcc_lo
	v_and_b32_e32 v41, 0xfc, v41
	s_delay_alu instid0(VALU_DEP_2) | instskip(NEXT) | instid1(VALU_DEP_2)
	v_cmp_eq_u64_e32 vcc_lo, 0, v[118:119]
	v_and_or_b32 v118, v118, 3, v41
	s_and_b32 s7, s7, vcc_lo
	s_delay_alu instid0(VALU_DEP_1) | instid1(SALU_CYCLE_1)
	v_cndmask_b32_e64 v118, v118, 0, s7
	s_delay_alu instid0(VALU_DEP_1)
	v_or_b32_e32 v46, v118, v30
.LBB2_1195:                             ;   in Loop: Header=BB2_979 Depth=2
	s_or_b32 exec_lo, exec_lo, s21
                                        ; implicit-def: $vgpr30
.LBB2_1196:                             ;   in Loop: Header=BB2_979 Depth=2
	s_and_not1_saveexec_b32 s7, s20
; %bb.1197:                             ;   in Loop: Header=BB2_979 Depth=2
	v_or_b32_e32 v46, 0x7b, v30
; %bb.1198:                             ;   in Loop: Header=BB2_979 Depth=2
	s_or_b32 exec_lo, exec_lo, s7
                                        ; implicit-def: $vgpr40
                                        ; implicit-def: $vgpr118_vgpr119
                                        ; implicit-def: $vgpr30
.LBB2_1199:                             ;   in Loop: Header=BB2_979 Depth=2
	s_and_not1_saveexec_b32 s7, s19
	s_cbranch_execz .LBB2_1205
; %bb.1200:                             ;   in Loop: Header=BB2_979 Depth=2
	s_mov_b32 s19, exec_lo
                                        ; implicit-def: $vgpr46
	v_cmpx_ne_u64_e32 0, v[118:119]
	s_xor_b32 s19, exec_lo, s19
; %bb.1201:                             ;   in Loop: Header=BB2_979 Depth=2
	v_or_b32_e32 v46, 0x7f, v30
                                        ; implicit-def: $vgpr40
; %bb.1202:                             ;   in Loop: Header=BB2_979 Depth=2
	s_and_not1_saveexec_b32 s19, s19
; %bb.1203:                             ;   in Loop: Header=BB2_979 Depth=2
	v_cmp_lt_i32_e32 vcc_lo, -1, v40
	v_cndmask_b32_e32 v46, 0xfc, v59, vcc_lo
; %bb.1204:                             ;   in Loop: Header=BB2_979 Depth=2
	s_or_b32 exec_lo, exec_lo, s19
.LBB2_1205:                             ;   in Loop: Header=BB2_979 Depth=2
	s_delay_alu instid0(SALU_CYCLE_1)
	s_or_b32 exec_lo, exec_lo, s7
	v_mov_b32_e32 v118, 0
	s_mov_b32 s7, exec_lo
	v_cmpx_lt_u32_e32 0xffffff, v64
	s_cbranch_execz .LBB2_1215
; %bb.1206:                             ;   in Loop: Header=BB2_979 Depth=2
	v_lshrrev_b32_e32 v30, 24, v64
	v_bfrev_b32_e32 v118, 1
	s_mov_b32 s19, exec_lo
	s_delay_alu instid0(VALU_DEP_2)
	v_cmpx_ne_u32_e32 0x80, v30
	s_cbranch_execz .LBB2_1214
; %bb.1207:                             ;   in Loop: Header=BB2_979 Depth=2
	v_and_b32_e32 v118, 0x7c000000, v64
	v_bfe_u32 v119, v64, 24, 2
	s_delay_alu instid0(VALU_DEP_2) | instskip(SKIP_1) | instid1(SALU_CYCLE_1)
	v_cmp_ne_u32_e32 vcc_lo, 0x7c000000, v118
                                        ; implicit-def: $vgpr118
	s_and_saveexec_b32 s20, vcc_lo
	s_xor_b32 s20, exec_lo, s20
	s_cbranch_execz .LBB2_1211
; %bb.1208:                             ;   in Loop: Header=BB2_979 Depth=2
	v_bfe_u32 v118, v64, 26, 5
	s_mov_b32 s21, exec_lo
	s_delay_alu instid0(VALU_DEP_1)
	v_cmpx_eq_u32_e32 0, v118
; %bb.1209:                             ;   in Loop: Header=BB2_979 Depth=2
	v_clz_i32_u32_e32 v118, v119
	s_delay_alu instid0(VALU_DEP_1) | instskip(NEXT) | instid1(VALU_DEP_1)
	v_min_u32_e32 v118, 32, v118
	v_subrev_nc_u32_e32 v119, 29, v118
	s_delay_alu instid0(VALU_DEP_1) | instskip(NEXT) | instid1(VALU_DEP_1)
	v_lshlrev_b64_e32 v[40:41], v119, v[30:31]
	v_dual_sub_nc_u32 v118, 30, v118 :: v_dual_bitop2_b32 v119, 3, v40 bitop3:0x40
; %bb.1210:                             ;   in Loop: Header=BB2_979 Depth=2
	s_or_b32 exec_lo, exec_lo, s21
	v_and_b32_e32 v30, 0x80000000, v64
	s_delay_alu instid0(VALU_DEP_1) | instskip(NEXT) | instid1(VALU_DEP_1)
	v_lshl_add_u32 v30, v118, 23, v30
	v_lshl_or_b32 v30, v119, 21, v30
                                        ; implicit-def: $vgpr119
	s_delay_alu instid0(VALU_DEP_1)
	v_add_nc_u32_e32 v118, 0x38000000, v30
.LBB2_1211:                             ;   in Loop: Header=BB2_979 Depth=2
	s_and_not1_saveexec_b32 s20, s20
; %bb.1212:                             ;   in Loop: Header=BB2_979 Depth=2
	v_cmp_lt_i32_e32 vcc_lo, -1, v64
	v_cndmask_b32_e32 v30, 0xff800000, v21, vcc_lo
	v_cmp_eq_u32_e32 vcc_lo, 0, v119
	s_delay_alu instid0(VALU_DEP_2)
	v_cndmask_b32_e32 v118, 0x7f800001, v30, vcc_lo
; %bb.1213:                             ;   in Loop: Header=BB2_979 Depth=2
	s_or_b32 exec_lo, exec_lo, s20
.LBB2_1214:                             ;   in Loop: Header=BB2_979 Depth=2
	s_delay_alu instid0(SALU_CYCLE_1)
	s_or_b32 exec_lo, exec_lo, s19
.LBB2_1215:                             ;   in Loop: Header=BB2_979 Depth=2
	s_delay_alu instid0(SALU_CYCLE_1) | instskip(NEXT) | instid1(VALU_DEP_1)
	s_or_b32 exec_lo, exec_lo, s7
	v_dual_mul_f32 v118, v56, v118 :: v_dual_mov_b32 v41, v65
                                        ; implicit-def: $vgpr47
	s_mov_b32 s7, exec_lo
	s_delay_alu instid0(VALU_DEP_1) | instskip(SKIP_2) | instid1(VALU_DEP_3)
	v_and_b32_e32 v40, 0x7f800000, v118
	v_and_b32_e32 v64, 0x7fffff, v118
	v_lshrrev_b32_e32 v30, 24, v118
	v_cmpx_ne_u64_e32 0x7f800000, v[40:41]
	s_xor_b32 s19, exec_lo, s7
	s_cbranch_execz .LBB2_1229
; %bb.1216:                             ;   in Loop: Header=BB2_979 Depth=2
	v_and_b32_e32 v40, 0x7fffffff, v118
	v_mov_b32_e32 v41, v65
	v_and_b32_e32 v30, 0x80, v30
                                        ; implicit-def: $vgpr47
	s_mov_b32 s7, exec_lo
	s_delay_alu instid0(VALU_DEP_2)
	v_cmpx_gt_u64_e32 0x47600001, v[40:41]
	s_xor_b32 s20, exec_lo, s7
	s_cbranch_execz .LBB2_1226
; %bb.1217:                             ;   in Loop: Header=BB2_979 Depth=2
	v_mov_b32_e32 v47, 0
	s_mov_b32 s21, exec_lo
	v_cmpx_ne_u32_e32 0, v118
	s_cbranch_execz .LBB2_1225
; %bb.1218:                             ;   in Loop: Header=BB2_979 Depth=2
	v_bfe_u32 v47, v118, 23, 8
	v_or_b32_e32 v40, 0x800000, v64
	s_delay_alu instid0(VALU_DEP_2) | instskip(SKIP_1) | instid1(VALU_DEP_2)
	v_sub_nc_u32_e32 v118, 0x71, v47
	v_cmp_gt_u32_e32 vcc_lo, 0x72, v47
	v_cndmask_b32_e32 v118, 0, v118, vcc_lo
	v_cmp_eq_u32_e32 vcc_lo, 0, v47
	s_delay_alu instid0(VALU_DEP_2) | instskip(SKIP_1) | instid1(VALU_DEP_2)
	v_cndmask_b32_e64 v72, v118, 0x70, vcc_lo
	v_cndmask_b32_e32 v64, v40, v64, vcc_lo
	v_dual_add_nc_u32 v118, 21, v72 :: v_dual_add_nc_u32 v41, 20, v72
	s_delay_alu instid0(VALU_DEP_1) | instskip(NEXT) | instid1(VALU_DEP_2)
	v_lshlrev_b64_e64 v[118:119], v118, -1
	v_lshlrev_b64_e64 v[40:41], v41, 1
	s_delay_alu instid0(VALU_DEP_2) | instskip(NEXT) | instid1(VALU_DEP_3)
	v_bfi_b32 v75, v119, 0, 0
	v_bfi_b32 v74, v118, 0, v64
	v_lshrrev_b64 v[118:119], v72, v[64:65]
	s_delay_alu instid0(VALU_DEP_2) | instskip(NEXT) | instid1(VALU_DEP_2)
	v_cmp_eq_u64_e64 s7, v[74:75], v[40:41]
	v_mov_b64_e32 v[40:41], v[118:119]
	s_and_saveexec_b32 s22, s7
; %bb.1219:                             ;   in Loop: Header=BB2_979 Depth=2
	v_bfe_u32 v64, v118, 21, 1
	s_delay_alu instid0(VALU_DEP_1) | instskip(NEXT) | instid1(VALU_DEP_1)
	v_add_nc_u64_e32 v[40:41], v[118:119], v[64:65]
	v_add_nc_u64_e32 v[40:41], -1, v[40:41]
; %bb.1220:                             ;   in Loop: Header=BB2_979 Depth=2
	s_or_b32 exec_lo, exec_lo, s22
	v_add_nc_u32_e32 v64, 0xffffff81, v47
	v_lshrrev_b32_e32 v119, 23, v118
	s_mov_b32 s7, exec_lo
	s_delay_alu instid0(VALU_DEP_2) | instskip(NEXT) | instid1(VALU_DEP_1)
	v_cndmask_b32_e64 v64, v64, 0xffffff82, vcc_lo
	v_add3_u32 v41, v72, v64, v119
	v_and_b32_e32 v64, 0x1fffff, v40
                                        ; implicit-def: $vgpr40
	s_delay_alu instid0(VALU_DEP_1) | instskip(NEXT) | instid1(VALU_DEP_1)
	v_dual_add_nc_u32 v47, 14, v41 :: v_dual_add_nc_u32 v64, v64, v118
                                        ; implicit-def: $vgpr118_vgpr119
	v_cmpx_ne_u32_e32 0, v47
	s_xor_b32 s7, exec_lo, s7
; %bb.1221:                             ;   in Loop: Header=BB2_979 Depth=2
	s_delay_alu instid0(VALU_DEP_2) | instskip(SKIP_1) | instid1(VALU_DEP_1)
	v_cmp_lt_u64_e32 vcc_lo, 0xffffff, v[64:65]
	v_add_nc_u32_e32 v118, 15, v41
	v_cndmask_b32_e32 v40, v47, v118, vcc_lo
	v_cndmask_b32_e64 v118, 0, 1, vcc_lo
	s_delay_alu instid0(VALU_DEP_1)
	v_lshrrev_b64 v[118:119], v118, v[64:65]
; %bb.1222:                             ;   in Loop: Header=BB2_979 Depth=2
	s_and_not1_saveexec_b32 s7, s7
; %bb.1223:                             ;   in Loop: Header=BB2_979 Depth=2
	v_mov_b64_e32 v[118:119], v[64:65]
	v_bfe_u32 v40, v64, 23, 1
; %bb.1224:                             ;   in Loop: Header=BB2_979 Depth=2
	s_or_b32 exec_lo, exec_lo, s7
	s_delay_alu instid0(VALU_DEP_2) | instskip(NEXT) | instid1(VALU_DEP_2)
	v_lshrrev_b64 v[118:119], 21, v[118:119]
	v_cmp_gt_i32_e32 vcc_lo, 32, v40
	v_min_i32_e32 v64, 31, v40
	v_cmp_eq_u32_e64 s7, 0, v40
	s_delay_alu instid0(VALU_DEP_2) | instskip(SKIP_1) | instid1(VALU_DEP_2)
	v_dual_cndmask_b32 v119, 0, v119 :: v_dual_lshlrev_b32 v64, 2, v64
	v_cndmask_b32_e32 v118, 3, v118, vcc_lo
	v_and_b32_e32 v64, 0xfc, v64
	s_delay_alu instid0(VALU_DEP_2) | instskip(NEXT) | instid1(VALU_DEP_2)
	v_cmp_eq_u64_e32 vcc_lo, 0, v[118:119]
	v_and_or_b32 v64, v118, 3, v64
	s_and_b32 s7, s7, vcc_lo
	s_delay_alu instid0(VALU_DEP_1) | instid1(SALU_CYCLE_1)
	v_cndmask_b32_e64 v64, v64, 0, s7
	s_delay_alu instid0(VALU_DEP_1)
	v_or_b32_e32 v47, v64, v30
.LBB2_1225:                             ;   in Loop: Header=BB2_979 Depth=2
	s_or_b32 exec_lo, exec_lo, s21
                                        ; implicit-def: $vgpr30
.LBB2_1226:                             ;   in Loop: Header=BB2_979 Depth=2
	s_and_not1_saveexec_b32 s7, s20
; %bb.1227:                             ;   in Loop: Header=BB2_979 Depth=2
	v_or_b32_e32 v47, 0x7b, v30
; %bb.1228:                             ;   in Loop: Header=BB2_979 Depth=2
	s_or_b32 exec_lo, exec_lo, s7
                                        ; implicit-def: $vgpr118
                                        ; implicit-def: $vgpr30
.LBB2_1229:                             ;   in Loop: Header=BB2_979 Depth=2
	s_and_not1_saveexec_b32 s7, s19
	s_cbranch_execz .LBB2_1235
; %bb.1230:                             ;   in Loop: Header=BB2_979 Depth=2
	s_mov_b32 s19, exec_lo
                                        ; implicit-def: $vgpr47
	v_cmpx_ne_u64_e32 0, v[64:65]
	s_xor_b32 s19, exec_lo, s19
; %bb.1231:                             ;   in Loop: Header=BB2_979 Depth=2
	v_or_b32_e32 v47, 0x7f, v30
                                        ; implicit-def: $vgpr118
; %bb.1232:                             ;   in Loop: Header=BB2_979 Depth=2
	s_and_not1_saveexec_b32 s19, s19
; %bb.1233:                             ;   in Loop: Header=BB2_979 Depth=2
	v_cmp_lt_i32_e32 vcc_lo, -1, v118
	v_cndmask_b32_e32 v47, 0xfc, v59, vcc_lo
; %bb.1234:                             ;   in Loop: Header=BB2_979 Depth=2
	s_or_b32 exec_lo, exec_lo, s19
.LBB2_1235:                             ;   in Loop: Header=BB2_979 Depth=2
	s_delay_alu instid0(SALU_CYCLE_1) | instskip(SKIP_4) | instid1(VALU_DEP_2)
	s_or_b32 exec_lo, exec_lo, s7
	s_wait_loadcnt 0x0
	v_and_b32_e32 v64, 0xff, v2
	v_dual_mov_b32 v30, 0 :: v_dual_mov_b32 v118, 0
	s_mov_b32 s7, exec_lo
	v_cmpx_ne_u16_e32 0, v64
	s_cbranch_execz .LBB2_1245
; %bb.1236:                             ;   in Loop: Header=BB2_979 Depth=2
	v_bfe_i32 v119, v2, 0, 8
	v_bfrev_b32_e32 v118, 1
	s_mov_b32 s19, exec_lo
	s_delay_alu instid0(VALU_DEP_2)
	v_cmpx_ne_u16_e32 0xff80, v119
	s_cbranch_execz .LBB2_1244
; %bb.1237:                             ;   in Loop: Header=BB2_979 Depth=2
	v_and_b32_e32 v118, 0x7c, v2
	v_and_b32_e32 v64, 3, v2
	s_delay_alu instid0(VALU_DEP_2) | instskip(SKIP_1) | instid1(SALU_CYCLE_1)
	v_cmp_ne_u32_e32 vcc_lo, 0x7c, v118
                                        ; implicit-def: $vgpr118
	s_and_saveexec_b32 s20, vcc_lo
	s_xor_b32 s20, exec_lo, s20
	s_cbranch_execz .LBB2_1241
; %bb.1238:                             ;   in Loop: Header=BB2_979 Depth=2
	v_bfe_u32 v118, v2, 2, 5
	s_mov_b32 s21, exec_lo
	s_delay_alu instid0(VALU_DEP_1)
	v_cmpx_eq_u32_e32 0, v118
; %bb.1239:                             ;   in Loop: Header=BB2_979 Depth=2
	v_clz_i32_u32_e32 v64, v64
	s_delay_alu instid0(VALU_DEP_1) | instskip(NEXT) | instid1(VALU_DEP_1)
	v_min_u32_e32 v64, 32, v64
	v_subrev_nc_u32_e32 v118, 29, v64
	s_delay_alu instid0(VALU_DEP_1) | instskip(SKIP_1) | instid1(VALU_DEP_2)
	v_lshlrev_b64_e32 v[40:41], v118, v[2:3]
	v_sub_nc_u32_e32 v118, 30, v64
	v_and_b32_e32 v64, 3, v40
; %bb.1240:                             ;   in Loop: Header=BB2_979 Depth=2
	s_or_b32 exec_lo, exec_lo, s21
	v_lshlrev_b32_e32 v3, 24, v2
                                        ; implicit-def: $vgpr119
	s_delay_alu instid0(VALU_DEP_1) | instskip(NEXT) | instid1(VALU_DEP_1)
	v_and_b32_e32 v3, 0x80000000, v3
	v_lshl_add_u32 v3, v118, 23, v3
	s_delay_alu instid0(VALU_DEP_1) | instskip(NEXT) | instid1(VALU_DEP_1)
	v_lshl_or_b32 v3, v64, 21, v3
                                        ; implicit-def: $vgpr64
	v_add_nc_u32_e32 v118, 0x38000000, v3
.LBB2_1241:                             ;   in Loop: Header=BB2_979 Depth=2
	s_and_not1_saveexec_b32 s20, s20
; %bb.1242:                             ;   in Loop: Header=BB2_979 Depth=2
	v_cmp_lt_i16_e32 vcc_lo, -1, v119
	v_cndmask_b32_e32 v3, 0xff800000, v21, vcc_lo
	v_cmp_eq_u32_e32 vcc_lo, 0, v64
	s_delay_alu instid0(VALU_DEP_2)
	v_cndmask_b32_e32 v118, 0x7f800001, v3, vcc_lo
; %bb.1243:                             ;   in Loop: Header=BB2_979 Depth=2
	s_or_b32 exec_lo, exec_lo, s20
.LBB2_1244:                             ;   in Loop: Header=BB2_979 Depth=2
	s_delay_alu instid0(SALU_CYCLE_1)
	s_or_b32 exec_lo, exec_lo, s19
.LBB2_1245:                             ;   in Loop: Header=BB2_979 Depth=2
	s_delay_alu instid0(SALU_CYCLE_1) | instskip(SKIP_3) | instid1(VALU_DEP_1)
	s_or_b32 exec_lo, exec_lo, s7
	v_lshl_or_b32 v3, v44, 8, v117
	v_dual_lshlrev_b32 v64, 16, v62 :: v_dual_lshlrev_b32 v119, 24, v63
	s_mov_b32 s7, exec_lo
	v_or3_b32 v64, v64, v119, v3
	v_cmpx_ne_u32_e32 0, v117
	s_cbranch_execz .LBB2_1255
; %bb.1246:                             ;   in Loop: Header=BB2_979 Depth=2
	v_bfrev_b32_e32 v30, 1
	s_mov_b32 s19, exec_lo
	v_cmpx_ne_u32_e32 0x80, v117
	s_cbranch_execz .LBB2_1254
; %bb.1247:                             ;   in Loop: Header=BB2_979 Depth=2
	v_and_b32_e32 v30, 0x7c, v117
	v_and_b32_e32 v119, 3, v117
	s_delay_alu instid0(VALU_DEP_2) | instskip(SKIP_1) | instid1(SALU_CYCLE_1)
	v_cmp_ne_u32_e32 vcc_lo, 0x7c, v30
                                        ; implicit-def: $vgpr30
	s_and_saveexec_b32 s20, vcc_lo
	s_xor_b32 s20, exec_lo, s20
	s_cbranch_execz .LBB2_1251
; %bb.1248:                             ;   in Loop: Header=BB2_979 Depth=2
	v_bfe_u32 v30, v117, 2, 5
	s_mov_b32 s21, exec_lo
	s_delay_alu instid0(VALU_DEP_1)
	v_cmpx_eq_u32_e32 0, v30
; %bb.1249:                             ;   in Loop: Header=BB2_979 Depth=2
	v_clz_i32_u32_e32 v30, v119
	s_delay_alu instid0(VALU_DEP_1) | instskip(NEXT) | instid1(VALU_DEP_1)
	v_min_u32_e32 v30, 32, v30
	v_subrev_nc_u32_e32 v119, 29, v30
	s_delay_alu instid0(VALU_DEP_1) | instskip(NEXT) | instid1(VALU_DEP_1)
	v_lshlrev_b64_e32 v[40:41], v119, v[64:65]
	v_dual_sub_nc_u32 v30, 30, v30 :: v_dual_bitop2_b32 v119, 3, v40 bitop3:0x40
; %bb.1250:                             ;   in Loop: Header=BB2_979 Depth=2
	s_or_b32 exec_lo, exec_lo, s21
	v_lshlrev_b32_e32 v117, 24, v117
	s_delay_alu instid0(VALU_DEP_1) | instskip(NEXT) | instid1(VALU_DEP_1)
	v_and_b32_e32 v117, 0x80000000, v117
	v_lshl_add_u32 v30, v30, 23, v117
                                        ; implicit-def: $vgpr117
	s_delay_alu instid0(VALU_DEP_1) | instskip(NEXT) | instid1(VALU_DEP_1)
	v_lshl_or_b32 v30, v119, 21, v30
                                        ; implicit-def: $vgpr119
	v_add_nc_u32_e32 v30, 0x38000000, v30
.LBB2_1251:                             ;   in Loop: Header=BB2_979 Depth=2
	s_and_not1_saveexec_b32 s20, s20
; %bb.1252:                             ;   in Loop: Header=BB2_979 Depth=2
	v_and_b32_e32 v30, 0x80, v117
	s_delay_alu instid0(VALU_DEP_1) | instskip(SKIP_2) | instid1(VALU_DEP_2)
	v_cmp_eq_u32_e32 vcc_lo, 0, v30
	v_cndmask_b32_e32 v30, 0xff800000, v21, vcc_lo
	v_cmp_eq_u32_e32 vcc_lo, 0, v119
	v_cndmask_b32_e32 v30, 0x7f800001, v30, vcc_lo
; %bb.1253:                             ;   in Loop: Header=BB2_979 Depth=2
	s_or_b32 exec_lo, exec_lo, s20
.LBB2_1254:                             ;   in Loop: Header=BB2_979 Depth=2
	s_delay_alu instid0(SALU_CYCLE_1)
	s_or_b32 exec_lo, exec_lo, s19
.LBB2_1255:                             ;   in Loop: Header=BB2_979 Depth=2
	s_delay_alu instid0(SALU_CYCLE_1) | instskip(NEXT) | instid1(VALU_DEP_1)
	s_or_b32 exec_lo, exec_lo, s7
	v_dual_add_f32 v40, v118, v30 :: v_dual_mov_b32 v63, v65
	v_mov_b32_e32 v119, v65
                                        ; implicit-def: $vgpr117
	s_mov_b32 s7, exec_lo
	s_delay_alu instid0(VALU_DEP_2) | instskip(SKIP_2) | instid1(VALU_DEP_3)
	v_and_b32_e32 v62, 0x7f800000, v40
	v_and_b32_e32 v118, 0x7fffff, v40
	v_lshrrev_b32_e32 v30, 24, v40
	v_cmpx_ne_u64_e32 0x7f800000, v[62:63]
	s_xor_b32 s19, exec_lo, s7
	s_cbranch_execz .LBB2_1269
; %bb.1256:                             ;   in Loop: Header=BB2_979 Depth=2
	v_and_b32_e32 v62, 0x7fffffff, v40
	v_mov_b32_e32 v63, v65
	v_and_b32_e32 v30, 0x80, v30
                                        ; implicit-def: $vgpr117
	s_mov_b32 s7, exec_lo
	s_delay_alu instid0(VALU_DEP_2)
	v_cmpx_gt_u64_e32 0x47600001, v[62:63]
	s_xor_b32 s20, exec_lo, s7
	s_cbranch_execz .LBB2_1266
; %bb.1257:                             ;   in Loop: Header=BB2_979 Depth=2
	v_mov_b32_e32 v117, 0
	s_mov_b32 s21, exec_lo
	v_cmpx_ne_u32_e32 0, v40
	s_cbranch_execz .LBB2_1265
; %bb.1258:                             ;   in Loop: Header=BB2_979 Depth=2
	v_bfe_u32 v117, v40, 23, 8
	v_or_b32_e32 v62, 0x800000, v118
	s_delay_alu instid0(VALU_DEP_2) | instskip(SKIP_1) | instid1(VALU_DEP_2)
	v_sub_nc_u32_e32 v40, 0x71, v117
	v_cmp_gt_u32_e32 vcc_lo, 0x72, v117
	v_cndmask_b32_e32 v40, 0, v40, vcc_lo
	v_cmp_eq_u32_e32 vcc_lo, 0, v117
	v_cndmask_b32_e32 v118, v62, v118, vcc_lo
	s_delay_alu instid0(VALU_DEP_3) | instskip(NEXT) | instid1(VALU_DEP_1)
	v_cndmask_b32_e64 v44, v40, 0x70, vcc_lo
	v_dual_add_nc_u32 v40, 21, v44 :: v_dual_add_nc_u32 v63, 20, v44
	s_delay_alu instid0(VALU_DEP_1) | instskip(NEXT) | instid1(VALU_DEP_2)
	v_lshlrev_b64_e64 v[40:41], v40, -1
	v_lshlrev_b64_e64 v[62:63], v63, 1
	s_delay_alu instid0(VALU_DEP_2) | instskip(SKIP_1) | instid1(VALU_DEP_4)
	v_bfi_b32 v40, v40, 0, v118
	v_lshrrev_b64 v[118:119], v44, v[118:119]
	v_bfi_b32 v41, v41, 0, 0
	s_delay_alu instid0(VALU_DEP_1) | instskip(NEXT) | instid1(VALU_DEP_3)
	v_cmp_eq_u64_e64 s7, v[40:41], v[62:63]
	v_mov_b64_e32 v[40:41], v[118:119]
	s_and_saveexec_b32 s22, s7
; %bb.1259:                             ;   in Loop: Header=BB2_979 Depth=2
	v_bfe_u32 v40, v118, 21, 1
	v_mov_b32_e32 v41, v65
	s_delay_alu instid0(VALU_DEP_1) | instskip(NEXT) | instid1(VALU_DEP_1)
	v_add_nc_u64_e32 v[40:41], v[118:119], v[40:41]
	v_add_nc_u64_e32 v[40:41], -1, v[40:41]
; %bb.1260:                             ;   in Loop: Header=BB2_979 Depth=2
	s_or_b32 exec_lo, exec_lo, s22
	v_add_nc_u32_e32 v117, 0xffffff81, v117
	v_lshrrev_b32_e32 v119, 23, v118
	s_mov_b32 s7, exec_lo
	s_delay_alu instid0(VALU_DEP_2) | instskip(NEXT) | instid1(VALU_DEP_1)
	v_cndmask_b32_e64 v117, v117, 0xffffff82, vcc_lo
	v_add3_u32 v41, v44, v117, v119
	v_and_b32_e32 v117, 0x1fffff, v40
	s_delay_alu instid0(VALU_DEP_2) | instskip(NEXT) | instid1(VALU_DEP_2)
	v_dual_mov_b32 v119, v65 :: v_dual_add_nc_u32 v40, 14, v41
	v_add_nc_u32_e32 v118, v117, v118
                                        ; implicit-def: $vgpr117
	s_delay_alu instid0(VALU_DEP_2)
	v_cmpx_ne_u32_e32 0, v40
	s_xor_b32 s7, exec_lo, s7
; %bb.1261:                             ;   in Loop: Header=BB2_979 Depth=2
	s_delay_alu instid0(VALU_DEP_2) | instskip(SKIP_1) | instid1(VALU_DEP_1)
	v_cmp_lt_u64_e32 vcc_lo, 0xffffff, v[118:119]
	v_add_nc_u32_e32 v117, 15, v41
	v_cndmask_b32_e32 v117, v40, v117, vcc_lo
	v_cndmask_b32_e64 v40, 0, 1, vcc_lo
	s_delay_alu instid0(VALU_DEP_1)
	v_lshrrev_b64 v[118:119], v40, v[118:119]
; %bb.1262:                             ;   in Loop: Header=BB2_979 Depth=2
	s_and_not1_saveexec_b32 s7, s7
; %bb.1263:                             ;   in Loop: Header=BB2_979 Depth=2
	s_delay_alu instid0(VALU_DEP_1)
	v_bfe_u32 v117, v118, 23, 1
; %bb.1264:                             ;   in Loop: Header=BB2_979 Depth=2
	s_or_b32 exec_lo, exec_lo, s7
	s_delay_alu instid0(VALU_DEP_2) | instskip(NEXT) | instid1(VALU_DEP_2)
	v_lshrrev_b64 v[118:119], 21, v[118:119]
	v_cmp_gt_i32_e32 vcc_lo, 32, v117
	v_min_i32_e32 v40, 31, v117
	v_cmp_eq_u32_e64 s7, 0, v117
	s_delay_alu instid0(VALU_DEP_2) | instskip(SKIP_1) | instid1(VALU_DEP_2)
	v_dual_cndmask_b32 v119, 0, v119 :: v_dual_lshlrev_b32 v40, 2, v40
	v_cndmask_b32_e32 v118, 3, v118, vcc_lo
	v_and_b32_e32 v40, 0xfc, v40
	s_delay_alu instid0(VALU_DEP_2) | instskip(NEXT) | instid1(VALU_DEP_2)
	v_cmp_eq_u64_e32 vcc_lo, 0, v[118:119]
	v_and_or_b32 v117, v118, 3, v40
	s_and_b32 s7, s7, vcc_lo
	s_delay_alu instid0(VALU_DEP_1) | instid1(SALU_CYCLE_1)
	v_cndmask_b32_e64 v117, v117, 0, s7
	s_delay_alu instid0(VALU_DEP_1)
	v_or_b32_e32 v117, v117, v30
.LBB2_1265:                             ;   in Loop: Header=BB2_979 Depth=2
	s_or_b32 exec_lo, exec_lo, s21
                                        ; implicit-def: $vgpr30
.LBB2_1266:                             ;   in Loop: Header=BB2_979 Depth=2
	s_and_not1_saveexec_b32 s7, s20
; %bb.1267:                             ;   in Loop: Header=BB2_979 Depth=2
	v_or_b32_e32 v117, 0x7b, v30
; %bb.1268:                             ;   in Loop: Header=BB2_979 Depth=2
	s_or_b32 exec_lo, exec_lo, s7
                                        ; implicit-def: $vgpr40
                                        ; implicit-def: $vgpr118_vgpr119
                                        ; implicit-def: $vgpr30
.LBB2_1269:                             ;   in Loop: Header=BB2_979 Depth=2
	s_and_not1_saveexec_b32 s7, s19
	s_cbranch_execz .LBB2_1275
; %bb.1270:                             ;   in Loop: Header=BB2_979 Depth=2
	s_mov_b32 s19, exec_lo
                                        ; implicit-def: $vgpr117
	v_cmpx_ne_u64_e32 0, v[118:119]
	s_xor_b32 s19, exec_lo, s19
; %bb.1271:                             ;   in Loop: Header=BB2_979 Depth=2
	v_or_b32_e32 v117, 0x7f, v30
                                        ; implicit-def: $vgpr40
; %bb.1272:                             ;   in Loop: Header=BB2_979 Depth=2
	s_and_not1_saveexec_b32 s19, s19
; %bb.1273:                             ;   in Loop: Header=BB2_979 Depth=2
	v_cmp_lt_i32_e32 vcc_lo, -1, v40
	v_cndmask_b32_e32 v117, 0xfc, v59, vcc_lo
; %bb.1274:                             ;   in Loop: Header=BB2_979 Depth=2
	s_or_b32 exec_lo, exec_lo, s19
.LBB2_1275:                             ;   in Loop: Header=BB2_979 Depth=2
	s_delay_alu instid0(SALU_CYCLE_1) | instskip(SKIP_3) | instid1(VALU_DEP_2)
	s_or_b32 exec_lo, exec_lo, s7
	v_lshrrev_b16 v118, 8, v2
	v_dual_mov_b32 v30, 0 :: v_dual_mov_b32 v40, 0
	s_mov_b32 s7, exec_lo
	v_cmpx_ne_u16_e32 0, v118
	s_cbranch_execz .LBB2_1285
; %bb.1276:                             ;   in Loop: Header=BB2_979 Depth=2
	v_bfrev_b32_e32 v40, 1
	s_mov_b32 s19, exec_lo
	v_cmpx_ne_u16_e32 0x80, v118
	s_cbranch_execz .LBB2_1284
; %bb.1277:                             ;   in Loop: Header=BB2_979 Depth=2
	v_and_b32_e32 v41, 0xffff, v118
	s_delay_alu instid0(VALU_DEP_1) | instskip(SKIP_1) | instid1(VALU_DEP_2)
	v_and_b32_e32 v40, 0x7c, v41
	v_and_b32_e32 v119, 3, v41
	v_cmp_ne_u32_e32 vcc_lo, 0x7c, v40
                                        ; implicit-def: $vgpr40
	s_and_saveexec_b32 s20, vcc_lo
	s_delay_alu instid0(SALU_CYCLE_1)
	s_xor_b32 s20, exec_lo, s20
	s_cbranch_execz .LBB2_1281
; %bb.1278:                             ;   in Loop: Header=BB2_979 Depth=2
	v_bfe_u32 v40, v41, 2, 5
	s_mov_b32 s21, exec_lo
	s_delay_alu instid0(VALU_DEP_1)
	v_cmpx_eq_u32_e32 0, v40
	s_cbranch_execz .LBB2_1280
; %bb.1279:                             ;   in Loop: Header=BB2_979 Depth=2
	v_clz_i32_u32_e32 v119, v119
	s_delay_alu instid0(VALU_DEP_1) | instskip(SKIP_1) | instid1(VALU_DEP_2)
	v_min_u32_e32 v40, 32, v119
	v_mov_b32_e32 v119, v65
	v_subrev_nc_u32_e32 v41, 29, v40
	v_sub_nc_u32_e32 v40, 30, v40
	s_delay_alu instid0(VALU_DEP_2) | instskip(NEXT) | instid1(VALU_DEP_1)
	v_lshlrev_b64_e32 v[118:119], v41, v[118:119]
	v_and_b32_e32 v119, 3, v118
.LBB2_1280:                             ;   in Loop: Header=BB2_979 Depth=2
	s_or_b32 exec_lo, exec_lo, s21
	v_lshlrev_b32_e32 v118, 16, v2
	s_delay_alu instid0(VALU_DEP_1) | instskip(NEXT) | instid1(VALU_DEP_1)
	v_and_b32_e32 v118, 0x80000000, v118
	v_lshl_add_u32 v118, v40, 23, v118
	s_delay_alu instid0(VALU_DEP_1) | instskip(NEXT) | instid1(VALU_DEP_1)
	v_lshl_or_b32 v118, v119, 21, v118
                                        ; implicit-def: $vgpr119
	v_add_nc_u32_e32 v40, 0x38000000, v118
.LBB2_1281:                             ;   in Loop: Header=BB2_979 Depth=2
	s_and_not1_saveexec_b32 s20, s20
; %bb.1282:                             ;   in Loop: Header=BB2_979 Depth=2
	v_cmp_lt_i16_e32 vcc_lo, -1, v2
	v_cndmask_b32_e32 v118, 0xff800000, v21, vcc_lo
	v_cmp_eq_u32_e32 vcc_lo, 0, v119
	s_delay_alu instid0(VALU_DEP_2)
	v_cndmask_b32_e32 v40, 0x7f800001, v118, vcc_lo
; %bb.1283:                             ;   in Loop: Header=BB2_979 Depth=2
	s_or_b32 exec_lo, exec_lo, s20
.LBB2_1284:                             ;   in Loop: Header=BB2_979 Depth=2
	s_delay_alu instid0(SALU_CYCLE_1)
	s_or_b32 exec_lo, exec_lo, s19
.LBB2_1285:                             ;   in Loop: Header=BB2_979 Depth=2
	s_delay_alu instid0(SALU_CYCLE_1) | instskip(SKIP_2) | instid1(VALU_DEP_1)
	s_or_b32 exec_lo, exec_lo, s7
	v_lshrrev_b16 v118, 8, v3
	s_mov_b32 s7, exec_lo
	v_cmpx_ne_u16_e32 0, v118
	s_cbranch_execz .LBB2_1295
; %bb.1286:                             ;   in Loop: Header=BB2_979 Depth=2
	v_bfrev_b32_e32 v30, 1
	s_mov_b32 s19, exec_lo
	v_cmpx_ne_u16_e32 0x80, v118
	s_cbranch_execz .LBB2_1294
; %bb.1287:                             ;   in Loop: Header=BB2_979 Depth=2
	v_and_b32_e32 v41, 0xffff, v118
	s_delay_alu instid0(VALU_DEP_1) | instskip(SKIP_1) | instid1(VALU_DEP_2)
	v_and_b32_e32 v30, 0x7c, v41
	v_and_b32_e32 v119, 3, v41
	v_cmp_ne_u32_e32 vcc_lo, 0x7c, v30
                                        ; implicit-def: $vgpr30
	s_and_saveexec_b32 s20, vcc_lo
	s_delay_alu instid0(SALU_CYCLE_1)
	s_xor_b32 s20, exec_lo, s20
	s_cbranch_execz .LBB2_1291
; %bb.1288:                             ;   in Loop: Header=BB2_979 Depth=2
	v_bfe_u32 v30, v41, 2, 5
	s_mov_b32 s21, exec_lo
	s_delay_alu instid0(VALU_DEP_1)
	v_cmpx_eq_u32_e32 0, v30
	s_cbranch_execz .LBB2_1290
; %bb.1289:                             ;   in Loop: Header=BB2_979 Depth=2
	v_clz_i32_u32_e32 v30, v119
	s_delay_alu instid0(VALU_DEP_1) | instskip(SKIP_1) | instid1(VALU_DEP_2)
	v_min_u32_e32 v30, 32, v30
	v_mov_b32_e32 v119, v65
	v_subrev_nc_u32_e32 v41, 29, v30
	v_sub_nc_u32_e32 v30, 30, v30
	s_delay_alu instid0(VALU_DEP_2) | instskip(NEXT) | instid1(VALU_DEP_1)
	v_lshlrev_b64_e32 v[118:119], v41, v[118:119]
	v_and_b32_e32 v119, 3, v118
.LBB2_1290:                             ;   in Loop: Header=BB2_979 Depth=2
	s_or_b32 exec_lo, exec_lo, s21
	v_lshlrev_b32_e32 v3, 16, v3
	s_delay_alu instid0(VALU_DEP_1) | instskip(NEXT) | instid1(VALU_DEP_1)
	v_and_b32_e32 v3, 0x80000000, v3
	v_lshl_add_u32 v3, v30, 23, v3
	s_delay_alu instid0(VALU_DEP_1) | instskip(NEXT) | instid1(VALU_DEP_1)
	v_lshl_or_b32 v3, v119, 21, v3
                                        ; implicit-def: $vgpr119
	v_add_nc_u32_e32 v30, 0x38000000, v3
                                        ; implicit-def: $vgpr3
.LBB2_1291:                             ;   in Loop: Header=BB2_979 Depth=2
	s_and_not1_saveexec_b32 s20, s20
; %bb.1292:                             ;   in Loop: Header=BB2_979 Depth=2
	v_cmp_lt_i16_e32 vcc_lo, -1, v3
	v_cndmask_b32_e32 v3, 0xff800000, v21, vcc_lo
	v_cmp_eq_u32_e32 vcc_lo, 0, v119
	s_delay_alu instid0(VALU_DEP_2)
	v_cndmask_b32_e32 v30, 0x7f800001, v3, vcc_lo
; %bb.1293:                             ;   in Loop: Header=BB2_979 Depth=2
	s_or_b32 exec_lo, exec_lo, s20
.LBB2_1294:                             ;   in Loop: Header=BB2_979 Depth=2
	s_delay_alu instid0(SALU_CYCLE_1)
	s_or_b32 exec_lo, exec_lo, s19
.LBB2_1295:                             ;   in Loop: Header=BB2_979 Depth=2
	s_delay_alu instid0(SALU_CYCLE_1) | instskip(NEXT) | instid1(VALU_DEP_1)
	s_or_b32 exec_lo, exec_lo, s7
	v_dual_add_f32 v30, v40, v30 :: v_dual_mov_b32 v41, v65
	v_mov_b32_e32 v119, v65
                                        ; implicit-def: $vgpr44
	s_mov_b32 s7, exec_lo
	s_delay_alu instid0(VALU_DEP_2) | instskip(SKIP_2) | instid1(VALU_DEP_3)
	v_and_b32_e32 v40, 0x7f800000, v30
	v_and_b32_e32 v118, 0x7fffff, v30
	v_lshrrev_b32_e32 v3, 24, v30
	v_cmpx_ne_u64_e32 0x7f800000, v[40:41]
	s_xor_b32 s19, exec_lo, s7
	s_cbranch_execz .LBB2_1309
; %bb.1296:                             ;   in Loop: Header=BB2_979 Depth=2
	v_and_b32_e32 v40, 0x7fffffff, v30
	v_mov_b32_e32 v41, v65
	v_and_b32_e32 v3, 0x80, v3
                                        ; implicit-def: $vgpr44
	s_mov_b32 s7, exec_lo
	s_delay_alu instid0(VALU_DEP_2)
	v_cmpx_gt_u64_e32 0x47600001, v[40:41]
	s_xor_b32 s20, exec_lo, s7
	s_cbranch_execz .LBB2_1306
; %bb.1297:                             ;   in Loop: Header=BB2_979 Depth=2
	v_mov_b32_e32 v44, 0
	s_mov_b32 s21, exec_lo
	v_cmpx_ne_u32_e32 0, v30
	s_cbranch_execz .LBB2_1305
; %bb.1298:                             ;   in Loop: Header=BB2_979 Depth=2
	v_bfe_u32 v30, v30, 23, 8
	v_or_b32_e32 v62, 0x800000, v118
	s_delay_alu instid0(VALU_DEP_2) | instskip(SKIP_1) | instid1(VALU_DEP_2)
	v_sub_nc_u32_e32 v40, 0x71, v30
	v_cmp_gt_u32_e32 vcc_lo, 0x72, v30
	v_cndmask_b32_e32 v40, 0, v40, vcc_lo
	v_cmp_eq_u32_e32 vcc_lo, 0, v30
	v_cndmask_b32_e32 v118, v62, v118, vcc_lo
	s_delay_alu instid0(VALU_DEP_3) | instskip(NEXT) | instid1(VALU_DEP_1)
	v_cndmask_b32_e64 v44, v40, 0x70, vcc_lo
	v_dual_add_nc_u32 v40, 21, v44 :: v_dual_add_nc_u32 v63, 20, v44
	s_delay_alu instid0(VALU_DEP_1) | instskip(NEXT) | instid1(VALU_DEP_2)
	v_lshlrev_b64_e64 v[40:41], v40, -1
	v_lshlrev_b64_e64 v[62:63], v63, 1
	s_delay_alu instid0(VALU_DEP_2) | instskip(SKIP_1) | instid1(VALU_DEP_4)
	v_bfi_b32 v40, v40, 0, v118
	v_lshrrev_b64 v[118:119], v44, v[118:119]
	v_bfi_b32 v41, v41, 0, 0
	s_delay_alu instid0(VALU_DEP_1) | instskip(NEXT) | instid1(VALU_DEP_3)
	v_cmp_eq_u64_e64 s7, v[40:41], v[62:63]
	v_mov_b64_e32 v[40:41], v[118:119]
	s_and_saveexec_b32 s22, s7
; %bb.1299:                             ;   in Loop: Header=BB2_979 Depth=2
	v_bfe_u32 v40, v118, 21, 1
	v_mov_b32_e32 v41, v65
	s_delay_alu instid0(VALU_DEP_1) | instskip(NEXT) | instid1(VALU_DEP_1)
	v_add_nc_u64_e32 v[40:41], v[118:119], v[40:41]
	v_add_nc_u64_e32 v[40:41], -1, v[40:41]
; %bb.1300:                             ;   in Loop: Header=BB2_979 Depth=2
	s_or_b32 exec_lo, exec_lo, s22
	v_add_nc_u32_e32 v30, 0xffffff81, v30
	v_lshrrev_b32_e32 v119, 23, v118
	s_mov_b32 s7, exec_lo
	s_delay_alu instid0(VALU_DEP_2) | instskip(NEXT) | instid1(VALU_DEP_1)
	v_cndmask_b32_e64 v30, v30, 0xffffff82, vcc_lo
	v_add3_u32 v41, v44, v30, v119
	v_and_b32_e32 v30, 0x1fffff, v40
	s_delay_alu instid0(VALU_DEP_2) | instskip(NEXT) | instid1(VALU_DEP_2)
	v_dual_mov_b32 v119, v65 :: v_dual_add_nc_u32 v40, 14, v41
	v_add_nc_u32_e32 v118, v30, v118
                                        ; implicit-def: $vgpr30
	s_delay_alu instid0(VALU_DEP_2)
	v_cmpx_ne_u32_e32 0, v40
	s_xor_b32 s7, exec_lo, s7
; %bb.1301:                             ;   in Loop: Header=BB2_979 Depth=2
	s_delay_alu instid0(VALU_DEP_2) | instskip(SKIP_1) | instid1(VALU_DEP_1)
	v_cmp_lt_u64_e32 vcc_lo, 0xffffff, v[118:119]
	v_add_nc_u32_e32 v30, 15, v41
	v_cndmask_b32_e32 v30, v40, v30, vcc_lo
	v_cndmask_b32_e64 v40, 0, 1, vcc_lo
	s_delay_alu instid0(VALU_DEP_1)
	v_lshrrev_b64 v[118:119], v40, v[118:119]
; %bb.1302:                             ;   in Loop: Header=BB2_979 Depth=2
	s_and_not1_saveexec_b32 s7, s7
; %bb.1303:                             ;   in Loop: Header=BB2_979 Depth=2
	s_delay_alu instid0(VALU_DEP_1)
	v_bfe_u32 v30, v118, 23, 1
; %bb.1304:                             ;   in Loop: Header=BB2_979 Depth=2
	s_or_b32 exec_lo, exec_lo, s7
	s_delay_alu instid0(VALU_DEP_2) | instskip(NEXT) | instid1(VALU_DEP_2)
	v_lshrrev_b64 v[118:119], 21, v[118:119]
	v_cmp_gt_i32_e32 vcc_lo, 32, v30
	v_min_i32_e32 v40, 31, v30
	v_cmp_eq_u32_e64 s7, 0, v30
	s_delay_alu instid0(VALU_DEP_2) | instskip(SKIP_1) | instid1(VALU_DEP_2)
	v_dual_cndmask_b32 v119, 0, v119 :: v_dual_lshlrev_b32 v40, 2, v40
	v_cndmask_b32_e32 v118, 3, v118, vcc_lo
	v_and_b32_e32 v40, 0xfc, v40
	s_delay_alu instid0(VALU_DEP_2) | instskip(NEXT) | instid1(VALU_DEP_2)
	v_cmp_eq_u64_e32 vcc_lo, 0, v[118:119]
	v_and_or_b32 v30, v118, 3, v40
	s_and_b32 s7, s7, vcc_lo
	s_delay_alu instid0(VALU_DEP_1) | instid1(SALU_CYCLE_1)
	v_cndmask_b32_e64 v30, v30, 0, s7
	s_delay_alu instid0(VALU_DEP_1)
	v_or_b32_e32 v44, v30, v3
.LBB2_1305:                             ;   in Loop: Header=BB2_979 Depth=2
	s_or_b32 exec_lo, exec_lo, s21
                                        ; implicit-def: $vgpr3
.LBB2_1306:                             ;   in Loop: Header=BB2_979 Depth=2
	s_and_not1_saveexec_b32 s7, s20
; %bb.1307:                             ;   in Loop: Header=BB2_979 Depth=2
	v_or_b32_e32 v44, 0x7b, v3
; %bb.1308:                             ;   in Loop: Header=BB2_979 Depth=2
	s_or_b32 exec_lo, exec_lo, s7
                                        ; implicit-def: $vgpr30
                                        ; implicit-def: $vgpr118_vgpr119
                                        ; implicit-def: $vgpr3
.LBB2_1309:                             ;   in Loop: Header=BB2_979 Depth=2
	s_and_not1_saveexec_b32 s7, s19
	s_cbranch_execz .LBB2_1315
; %bb.1310:                             ;   in Loop: Header=BB2_979 Depth=2
	s_mov_b32 s19, exec_lo
                                        ; implicit-def: $vgpr44
	v_cmpx_ne_u64_e32 0, v[118:119]
	s_xor_b32 s19, exec_lo, s19
; %bb.1311:                             ;   in Loop: Header=BB2_979 Depth=2
	v_or_b32_e32 v44, 0x7f, v3
                                        ; implicit-def: $vgpr30
; %bb.1312:                             ;   in Loop: Header=BB2_979 Depth=2
	s_and_not1_saveexec_b32 s19, s19
; %bb.1313:                             ;   in Loop: Header=BB2_979 Depth=2
	v_cmp_lt_i32_e32 vcc_lo, -1, v30
	v_cndmask_b32_e32 v44, 0xfc, v59, vcc_lo
; %bb.1314:                             ;   in Loop: Header=BB2_979 Depth=2
	s_or_b32 exec_lo, exec_lo, s19
.LBB2_1315:                             ;   in Loop: Header=BB2_979 Depth=2
	s_delay_alu instid0(SALU_CYCLE_1) | instskip(SKIP_3) | instid1(VALU_DEP_2)
	s_or_b32 exec_lo, exec_lo, s7
	v_dual_lshrrev_b32 v30, 16, v2 :: v_dual_mov_b32 v118, 0
	v_mov_b32_e32 v3, 0
	s_mov_b32 s7, exec_lo
	v_and_b32_e32 v119, 0xff, v30
	s_delay_alu instid0(VALU_DEP_1)
	v_cmpx_ne_u16_e32 0, v119
	s_cbranch_execz .LBB2_1325
; %bb.1316:                             ;   in Loop: Header=BB2_979 Depth=2
	v_bfrev_b32_e32 v3, 1
	s_mov_b32 s19, exec_lo
	v_cmpx_ne_u16_e32 0x80, v119
	s_cbranch_execz .LBB2_1324
; %bb.1317:                             ;   in Loop: Header=BB2_979 Depth=2
	v_and_b32_e32 v3, 0x7c0000, v2
	v_bfe_u32 v119, v2, 16, 2
	s_delay_alu instid0(VALU_DEP_2) | instskip(SKIP_1) | instid1(SALU_CYCLE_1)
	v_cmp_ne_u32_e32 vcc_lo, 0x7c0000, v3
                                        ; implicit-def: $vgpr3
	s_and_saveexec_b32 s20, vcc_lo
	s_xor_b32 s20, exec_lo, s20
	s_cbranch_execz .LBB2_1321
; %bb.1318:                             ;   in Loop: Header=BB2_979 Depth=2
	v_bfe_u32 v3, v2, 18, 5
	s_mov_b32 s21, exec_lo
	s_delay_alu instid0(VALU_DEP_1)
	v_cmpx_eq_u32_e32 0, v3
; %bb.1319:                             ;   in Loop: Header=BB2_979 Depth=2
	v_clz_i32_u32_e32 v3, v119
	s_delay_alu instid0(VALU_DEP_1) | instskip(NEXT) | instid1(VALU_DEP_1)
	v_min_u32_e32 v3, 32, v3
	v_subrev_nc_u32_e32 v119, 29, v3
	s_delay_alu instid0(VALU_DEP_1) | instskip(NEXT) | instid1(VALU_DEP_1)
	v_lshlrev_b64_e32 v[40:41], v119, v[30:31]
	v_dual_sub_nc_u32 v3, 30, v3 :: v_dual_bitop2_b32 v119, 3, v40 bitop3:0x40
; %bb.1320:                             ;   in Loop: Header=BB2_979 Depth=2
	s_or_b32 exec_lo, exec_lo, s21
	v_lshlrev_b32_e32 v30, 24, v30
	s_delay_alu instid0(VALU_DEP_1) | instskip(NEXT) | instid1(VALU_DEP_1)
	v_and_b32_e32 v30, 0x80000000, v30
	v_lshl_add_u32 v3, v3, 23, v30
                                        ; implicit-def: $vgpr30
	s_delay_alu instid0(VALU_DEP_1) | instskip(NEXT) | instid1(VALU_DEP_1)
	v_lshl_or_b32 v3, v119, 21, v3
                                        ; implicit-def: $vgpr119
	v_add_nc_u32_e32 v3, 0x38000000, v3
.LBB2_1321:                             ;   in Loop: Header=BB2_979 Depth=2
	s_and_not1_saveexec_b32 s20, s20
; %bb.1322:                             ;   in Loop: Header=BB2_979 Depth=2
	v_bfe_i32 v3, v30, 0, 8
	s_delay_alu instid0(VALU_DEP_1) | instskip(SKIP_2) | instid1(VALU_DEP_2)
	v_cmp_lt_i16_e32 vcc_lo, -1, v3
	v_cndmask_b32_e32 v3, 0xff800000, v21, vcc_lo
	v_cmp_eq_u32_e32 vcc_lo, 0, v119
	v_cndmask_b32_e32 v3, 0x7f800001, v3, vcc_lo
; %bb.1323:                             ;   in Loop: Header=BB2_979 Depth=2
	s_or_b32 exec_lo, exec_lo, s20
.LBB2_1324:                             ;   in Loop: Header=BB2_979 Depth=2
	s_delay_alu instid0(SALU_CYCLE_1)
	s_or_b32 exec_lo, exec_lo, s19
.LBB2_1325:                             ;   in Loop: Header=BB2_979 Depth=2
	s_delay_alu instid0(SALU_CYCLE_1) | instskip(SKIP_2) | instid1(VALU_DEP_1)
	s_or_b32 exec_lo, exec_lo, s7
	v_lshrrev_b32_e32 v30, 16, v64
	s_mov_b32 s7, exec_lo
	v_and_b32_e32 v119, 0xff, v30
	s_delay_alu instid0(VALU_DEP_1)
	v_cmpx_ne_u16_e32 0, v119
	s_cbranch_execz .LBB2_1335
; %bb.1326:                             ;   in Loop: Header=BB2_979 Depth=2
	v_bfrev_b32_e32 v118, 1
	s_mov_b32 s19, exec_lo
	v_cmpx_ne_u16_e32 0x80, v119
	s_cbranch_execz .LBB2_1334
; %bb.1327:                             ;   in Loop: Header=BB2_979 Depth=2
	v_and_b32_e32 v118, 0x7c0000, v64
	v_bfe_u32 v119, v64, 16, 2
	s_delay_alu instid0(VALU_DEP_2) | instskip(SKIP_1) | instid1(SALU_CYCLE_1)
	v_cmp_ne_u32_e32 vcc_lo, 0x7c0000, v118
                                        ; implicit-def: $vgpr118
	s_and_saveexec_b32 s20, vcc_lo
	s_xor_b32 s20, exec_lo, s20
	s_cbranch_execz .LBB2_1331
; %bb.1328:                             ;   in Loop: Header=BB2_979 Depth=2
	v_bfe_u32 v118, v64, 18, 5
	v_lshrrev_b32_e32 v30, 16, v64
	s_mov_b32 s21, exec_lo
	s_delay_alu instid0(VALU_DEP_2)
	v_cmpx_eq_u32_e32 0, v118
; %bb.1329:                             ;   in Loop: Header=BB2_979 Depth=2
	v_clz_i32_u32_e32 v118, v119
	s_delay_alu instid0(VALU_DEP_1) | instskip(NEXT) | instid1(VALU_DEP_1)
	v_min_u32_e32 v118, 32, v118
	v_subrev_nc_u32_e32 v119, 29, v118
	s_delay_alu instid0(VALU_DEP_1) | instskip(NEXT) | instid1(VALU_DEP_1)
	v_lshlrev_b64_e32 v[40:41], v119, v[30:31]
	v_dual_sub_nc_u32 v118, 30, v118 :: v_dual_bitop2_b32 v119, 3, v40 bitop3:0x40
; %bb.1330:                             ;   in Loop: Header=BB2_979 Depth=2
	s_or_b32 exec_lo, exec_lo, s21
	v_lshlrev_b32_e32 v30, 24, v30
	s_delay_alu instid0(VALU_DEP_1) | instskip(NEXT) | instid1(VALU_DEP_1)
	v_and_b32_e32 v30, 0x80000000, v30
	v_lshl_add_u32 v30, v118, 23, v30
	s_delay_alu instid0(VALU_DEP_1) | instskip(NEXT) | instid1(VALU_DEP_1)
	v_lshl_or_b32 v30, v119, 21, v30
                                        ; implicit-def: $vgpr119
	v_add_nc_u32_e32 v118, 0x38000000, v30
                                        ; implicit-def: $vgpr30
.LBB2_1331:                             ;   in Loop: Header=BB2_979 Depth=2
	s_and_not1_saveexec_b32 s20, s20
; %bb.1332:                             ;   in Loop: Header=BB2_979 Depth=2
	v_bfe_i32 v30, v30, 0, 8
	s_delay_alu instid0(VALU_DEP_1) | instskip(SKIP_2) | instid1(VALU_DEP_2)
	v_cmp_lt_i16_e32 vcc_lo, -1, v30
	v_cndmask_b32_e32 v30, 0xff800000, v21, vcc_lo
	v_cmp_eq_u32_e32 vcc_lo, 0, v119
	v_cndmask_b32_e32 v118, 0x7f800001, v30, vcc_lo
; %bb.1333:                             ;   in Loop: Header=BB2_979 Depth=2
	s_or_b32 exec_lo, exec_lo, s20
.LBB2_1334:                             ;   in Loop: Header=BB2_979 Depth=2
	s_delay_alu instid0(SALU_CYCLE_1)
	s_or_b32 exec_lo, exec_lo, s19
.LBB2_1335:                             ;   in Loop: Header=BB2_979 Depth=2
	s_delay_alu instid0(SALU_CYCLE_1) | instskip(NEXT) | instid1(VALU_DEP_1)
	s_or_b32 exec_lo, exec_lo, s7
	v_dual_add_f32 v30, v3, v118 :: v_dual_mov_b32 v41, v65
	s_delay_alu instid0(VALU_DEP_1) | instskip(SKIP_2) | instid1(VALU_DEP_2)
	v_dual_mov_b32 v119, v65 :: v_dual_lshrrev_b32 v3, 24, v30
	v_and_b32_e32 v40, 0x7f800000, v30
	v_and_b32_e32 v118, 0x7fffff, v30
	v_cmp_ne_u64_e32 vcc_lo, 0x7f800000, v[40:41]
                                        ; implicit-def: $vgpr40
	s_and_saveexec_b32 s7, vcc_lo
	s_delay_alu instid0(SALU_CYCLE_1)
	s_xor_b32 s19, exec_lo, s7
	s_cbranch_execz .LBB2_1349
; %bb.1336:                             ;   in Loop: Header=BB2_979 Depth=2
	v_and_b32_e32 v40, 0x7fffffff, v30
	v_mov_b32_e32 v41, v65
	v_and_b32_e32 v3, 0x80, v3
	s_delay_alu instid0(VALU_DEP_2) | instskip(SKIP_1) | instid1(SALU_CYCLE_1)
	v_cmp_gt_u64_e32 vcc_lo, 0x47600001, v[40:41]
                                        ; implicit-def: $vgpr40
	s_and_saveexec_b32 s7, vcc_lo
	s_xor_b32 s20, exec_lo, s7
	s_cbranch_execz .LBB2_1346
; %bb.1337:                             ;   in Loop: Header=BB2_979 Depth=2
	v_mov_b32_e32 v40, 0
	s_mov_b32 s21, exec_lo
	v_cmpx_ne_u32_e32 0, v30
	s_cbranch_execz .LBB2_1345
; %bb.1338:                             ;   in Loop: Header=BB2_979 Depth=2
	v_bfe_u32 v30, v30, 23, 8
	v_or_b32_e32 v63, 0x800000, v118
	s_delay_alu instid0(VALU_DEP_2) | instskip(SKIP_1) | instid1(VALU_DEP_2)
	v_sub_nc_u32_e32 v40, 0x71, v30
	v_cmp_gt_u32_e32 vcc_lo, 0x72, v30
	v_cndmask_b32_e32 v40, 0, v40, vcc_lo
	v_cmp_eq_u32_e32 vcc_lo, 0, v30
	s_delay_alu instid0(VALU_DEP_2) | instskip(SKIP_1) | instid1(VALU_DEP_2)
	v_cndmask_b32_e64 v62, v40, 0x70, vcc_lo
	v_cndmask_b32_e32 v118, v63, v118, vcc_lo
	v_dual_add_nc_u32 v40, 21, v62 :: v_dual_add_nc_u32 v72, 20, v62
	s_delay_alu instid0(VALU_DEP_1) | instskip(NEXT) | instid1(VALU_DEP_2)
	v_lshlrev_b64_e64 v[40:41], v40, -1
	v_lshlrev_b64_e64 v[72:73], v72, 1
	s_delay_alu instid0(VALU_DEP_2) | instskip(SKIP_1) | instid1(VALU_DEP_4)
	v_bfi_b32 v40, v40, 0, v118
	v_lshrrev_b64 v[118:119], v62, v[118:119]
	v_bfi_b32 v41, v41, 0, 0
	s_delay_alu instid0(VALU_DEP_1) | instskip(NEXT) | instid1(VALU_DEP_3)
	v_cmp_eq_u64_e64 s7, v[40:41], v[72:73]
	v_mov_b64_e32 v[40:41], v[118:119]
	s_and_saveexec_b32 s22, s7
; %bb.1339:                             ;   in Loop: Header=BB2_979 Depth=2
	v_bfe_u32 v40, v118, 21, 1
	v_mov_b32_e32 v41, v65
	s_delay_alu instid0(VALU_DEP_1) | instskip(NEXT) | instid1(VALU_DEP_1)
	v_add_nc_u64_e32 v[40:41], v[118:119], v[40:41]
	v_add_nc_u64_e32 v[40:41], -1, v[40:41]
; %bb.1340:                             ;   in Loop: Header=BB2_979 Depth=2
	s_or_b32 exec_lo, exec_lo, s22
	v_add_nc_u32_e32 v30, 0xffffff81, v30
	v_lshrrev_b32_e32 v119, 23, v118
	s_mov_b32 s7, exec_lo
	s_delay_alu instid0(VALU_DEP_2) | instskip(NEXT) | instid1(VALU_DEP_1)
	v_cndmask_b32_e64 v30, v30, 0xffffff82, vcc_lo
	v_add3_u32 v41, v62, v30, v119
	v_and_b32_e32 v30, 0x1fffff, v40
	s_delay_alu instid0(VALU_DEP_2) | instskip(NEXT) | instid1(VALU_DEP_2)
	v_dual_mov_b32 v119, v65 :: v_dual_add_nc_u32 v40, 14, v41
	v_add_nc_u32_e32 v118, v30, v118
                                        ; implicit-def: $vgpr30
	s_delay_alu instid0(VALU_DEP_2)
	v_cmpx_ne_u32_e32 0, v40
	s_xor_b32 s7, exec_lo, s7
; %bb.1341:                             ;   in Loop: Header=BB2_979 Depth=2
	s_delay_alu instid0(VALU_DEP_2) | instskip(SKIP_1) | instid1(VALU_DEP_1)
	v_cmp_lt_u64_e32 vcc_lo, 0xffffff, v[118:119]
	v_add_nc_u32_e32 v30, 15, v41
	v_cndmask_b32_e32 v30, v40, v30, vcc_lo
	v_cndmask_b32_e64 v40, 0, 1, vcc_lo
	s_delay_alu instid0(VALU_DEP_1)
	v_lshrrev_b64 v[118:119], v40, v[118:119]
; %bb.1342:                             ;   in Loop: Header=BB2_979 Depth=2
	s_and_not1_saveexec_b32 s7, s7
; %bb.1343:                             ;   in Loop: Header=BB2_979 Depth=2
	s_delay_alu instid0(VALU_DEP_1)
	v_bfe_u32 v30, v118, 23, 1
; %bb.1344:                             ;   in Loop: Header=BB2_979 Depth=2
	s_or_b32 exec_lo, exec_lo, s7
	s_delay_alu instid0(VALU_DEP_2) | instskip(NEXT) | instid1(VALU_DEP_2)
	v_lshrrev_b64 v[118:119], 21, v[118:119]
	v_cmp_gt_i32_e32 vcc_lo, 32, v30
	v_min_i32_e32 v40, 31, v30
	v_cmp_eq_u32_e64 s7, 0, v30
	s_delay_alu instid0(VALU_DEP_2) | instskip(SKIP_1) | instid1(VALU_DEP_2)
	v_dual_cndmask_b32 v119, 0, v119 :: v_dual_lshlrev_b32 v40, 2, v40
	v_cndmask_b32_e32 v118, 3, v118, vcc_lo
	v_and_b32_e32 v40, 0xfc, v40
	s_delay_alu instid0(VALU_DEP_2) | instskip(NEXT) | instid1(VALU_DEP_2)
	v_cmp_eq_u64_e32 vcc_lo, 0, v[118:119]
	v_and_or_b32 v30, v118, 3, v40
	s_and_b32 s7, s7, vcc_lo
	s_delay_alu instid0(VALU_DEP_1) | instid1(SALU_CYCLE_1)
	v_cndmask_b32_e64 v30, v30, 0, s7
	s_delay_alu instid0(VALU_DEP_1)
	v_or_b32_e32 v40, v30, v3
.LBB2_1345:                             ;   in Loop: Header=BB2_979 Depth=2
	s_or_b32 exec_lo, exec_lo, s21
                                        ; implicit-def: $vgpr3
.LBB2_1346:                             ;   in Loop: Header=BB2_979 Depth=2
	s_and_not1_saveexec_b32 s7, s20
; %bb.1347:                             ;   in Loop: Header=BB2_979 Depth=2
	v_or_b32_e32 v40, 0x7b, v3
; %bb.1348:                             ;   in Loop: Header=BB2_979 Depth=2
	s_or_b32 exec_lo, exec_lo, s7
                                        ; implicit-def: $vgpr30
                                        ; implicit-def: $vgpr118_vgpr119
                                        ; implicit-def: $vgpr3
.LBB2_1349:                             ;   in Loop: Header=BB2_979 Depth=2
	s_and_not1_saveexec_b32 s7, s19
	s_cbranch_execz .LBB2_1355
; %bb.1350:                             ;   in Loop: Header=BB2_979 Depth=2
	s_mov_b32 s19, exec_lo
                                        ; implicit-def: $vgpr40
	v_cmpx_ne_u64_e32 0, v[118:119]
	s_xor_b32 s19, exec_lo, s19
; %bb.1351:                             ;   in Loop: Header=BB2_979 Depth=2
	v_or_b32_e32 v40, 0x7f, v3
                                        ; implicit-def: $vgpr30
; %bb.1352:                             ;   in Loop: Header=BB2_979 Depth=2
	s_and_not1_saveexec_b32 s19, s19
; %bb.1353:                             ;   in Loop: Header=BB2_979 Depth=2
	v_cmp_lt_i32_e32 vcc_lo, -1, v30
	v_cndmask_b32_e32 v40, 0xfc, v59, vcc_lo
; %bb.1354:                             ;   in Loop: Header=BB2_979 Depth=2
	s_or_b32 exec_lo, exec_lo, s19
.LBB2_1355:                             ;   in Loop: Header=BB2_979 Depth=2
	s_delay_alu instid0(SALU_CYCLE_1)
	s_or_b32 exec_lo, exec_lo, s7
	v_dual_mov_b32 v3, 0 :: v_dual_mov_b32 v118, 0
	s_mov_b32 s7, exec_lo
	v_cmpx_lt_u32_e32 0xffffff, v2
	s_cbranch_execz .LBB2_1365
; %bb.1356:                             ;   in Loop: Header=BB2_979 Depth=2
	v_lshrrev_b32_e32 v30, 24, v2
	v_bfrev_b32_e32 v118, 1
	s_mov_b32 s19, exec_lo
	s_delay_alu instid0(VALU_DEP_2)
	v_cmpx_ne_u32_e32 0x80, v30
	s_cbranch_execz .LBB2_1364
; %bb.1357:                             ;   in Loop: Header=BB2_979 Depth=2
	v_and_b32_e32 v118, 0x7c000000, v2
	v_bfe_u32 v119, v2, 24, 2
	s_delay_alu instid0(VALU_DEP_2) | instskip(SKIP_1) | instid1(SALU_CYCLE_1)
	v_cmp_ne_u32_e32 vcc_lo, 0x7c000000, v118
                                        ; implicit-def: $vgpr118
	s_and_saveexec_b32 s20, vcc_lo
	s_xor_b32 s20, exec_lo, s20
	s_cbranch_execz .LBB2_1361
; %bb.1358:                             ;   in Loop: Header=BB2_979 Depth=2
	v_bfe_u32 v118, v2, 26, 5
	s_mov_b32 s21, exec_lo
	s_delay_alu instid0(VALU_DEP_1)
	v_cmpx_eq_u32_e32 0, v118
; %bb.1359:                             ;   in Loop: Header=BB2_979 Depth=2
	v_clz_i32_u32_e32 v118, v119
	s_delay_alu instid0(VALU_DEP_1) | instskip(NEXT) | instid1(VALU_DEP_1)
	v_min_u32_e32 v118, 32, v118
	v_subrev_nc_u32_e32 v119, 29, v118
	v_sub_nc_u32_e32 v118, 30, v118
	s_delay_alu instid0(VALU_DEP_2) | instskip(NEXT) | instid1(VALU_DEP_1)
	v_lshlrev_b64_e32 v[62:63], v119, v[30:31]
	v_and_b32_e32 v119, 3, v62
; %bb.1360:                             ;   in Loop: Header=BB2_979 Depth=2
	s_or_b32 exec_lo, exec_lo, s21
	v_and_b32_e32 v2, 0x80000000, v2
	s_delay_alu instid0(VALU_DEP_1) | instskip(NEXT) | instid1(VALU_DEP_1)
	v_lshl_add_u32 v2, v118, 23, v2
	v_lshl_or_b32 v2, v119, 21, v2
                                        ; implicit-def: $vgpr119
	s_delay_alu instid0(VALU_DEP_1)
	v_add_nc_u32_e32 v118, 0x38000000, v2
.LBB2_1361:                             ;   in Loop: Header=BB2_979 Depth=2
	s_and_not1_saveexec_b32 s20, s20
; %bb.1362:                             ;   in Loop: Header=BB2_979 Depth=2
	v_cmp_lt_i32_e32 vcc_lo, -1, v2
	v_cndmask_b32_e32 v2, 0xff800000, v21, vcc_lo
	v_cmp_eq_u32_e32 vcc_lo, 0, v119
	s_delay_alu instid0(VALU_DEP_2)
	v_cndmask_b32_e32 v118, 0x7f800001, v2, vcc_lo
; %bb.1363:                             ;   in Loop: Header=BB2_979 Depth=2
	s_or_b32 exec_lo, exec_lo, s20
.LBB2_1364:                             ;   in Loop: Header=BB2_979 Depth=2
	s_delay_alu instid0(SALU_CYCLE_1)
	s_or_b32 exec_lo, exec_lo, s19
.LBB2_1365:                             ;   in Loop: Header=BB2_979 Depth=2
	s_delay_alu instid0(SALU_CYCLE_1) | instskip(NEXT) | instid1(SALU_CYCLE_1)
	s_or_b32 exec_lo, exec_lo, s7
	s_mov_b32 s7, exec_lo
	v_cmpx_lt_u32_e32 0xffffff, v64
	s_cbranch_execz .LBB2_1375
; %bb.1366:                             ;   in Loop: Header=BB2_979 Depth=2
	v_lshrrev_b32_e32 v2, 24, v64
	v_bfrev_b32_e32 v3, 1
	s_mov_b32 s19, exec_lo
	s_delay_alu instid0(VALU_DEP_2)
	v_cmpx_ne_u32_e32 0x80, v2
	s_cbranch_execz .LBB2_1374
; %bb.1367:                             ;   in Loop: Header=BB2_979 Depth=2
	v_and_b32_e32 v3, 0x7c000000, v64
	v_bfe_u32 v30, v64, 24, 2
	s_delay_alu instid0(VALU_DEP_2) | instskip(SKIP_1) | instid1(SALU_CYCLE_1)
	v_cmp_ne_u32_e32 vcc_lo, 0x7c000000, v3
                                        ; implicit-def: $vgpr3
	s_and_saveexec_b32 s20, vcc_lo
	s_xor_b32 s20, exec_lo, s20
	s_cbranch_execz .LBB2_1371
; %bb.1368:                             ;   in Loop: Header=BB2_979 Depth=2
	v_bfe_u32 v3, v64, 26, 5
	s_mov_b32 s21, exec_lo
	s_delay_alu instid0(VALU_DEP_1)
	v_cmpx_eq_u32_e32 0, v3
; %bb.1369:                             ;   in Loop: Header=BB2_979 Depth=2
	v_clz_i32_u32_e32 v3, v30
	s_delay_alu instid0(VALU_DEP_1) | instskip(NEXT) | instid1(VALU_DEP_1)
	v_min_u32_e32 v30, 32, v3
	v_subrev_nc_u32_e32 v3, 29, v30
	s_delay_alu instid0(VALU_DEP_1) | instskip(SKIP_1) | instid1(VALU_DEP_2)
	v_lshlrev_b64_e32 v[2:3], v3, v[2:3]
	v_sub_nc_u32_e32 v3, 30, v30
	v_and_b32_e32 v30, 3, v2
; %bb.1370:                             ;   in Loop: Header=BB2_979 Depth=2
	s_or_b32 exec_lo, exec_lo, s21
	v_and_b32_e32 v2, 0x80000000, v64
	s_delay_alu instid0(VALU_DEP_1) | instskip(NEXT) | instid1(VALU_DEP_1)
	v_lshl_add_u32 v2, v3, 23, v2
	v_lshl_or_b32 v2, v30, 21, v2
                                        ; implicit-def: $vgpr30
	s_delay_alu instid0(VALU_DEP_1)
	v_add_nc_u32_e32 v3, 0x38000000, v2
.LBB2_1371:                             ;   in Loop: Header=BB2_979 Depth=2
	s_and_not1_saveexec_b32 s20, s20
; %bb.1372:                             ;   in Loop: Header=BB2_979 Depth=2
	v_cmp_lt_i32_e32 vcc_lo, -1, v64
	v_cndmask_b32_e32 v2, 0xff800000, v21, vcc_lo
	v_cmp_eq_u32_e32 vcc_lo, 0, v30
	s_delay_alu instid0(VALU_DEP_2)
	v_cndmask_b32_e32 v3, 0x7f800001, v2, vcc_lo
; %bb.1373:                             ;   in Loop: Header=BB2_979 Depth=2
	s_or_b32 exec_lo, exec_lo, s20
.LBB2_1374:                             ;   in Loop: Header=BB2_979 Depth=2
	s_delay_alu instid0(SALU_CYCLE_1)
	s_or_b32 exec_lo, exec_lo, s19
.LBB2_1375:                             ;   in Loop: Header=BB2_979 Depth=2
	s_delay_alu instid0(SALU_CYCLE_1) | instskip(NEXT) | instid1(VALU_DEP_1)
	s_or_b32 exec_lo, exec_lo, s7
	v_dual_add_f32 v2, v118, v3 :: v_dual_mov_b32 v119, v65
                                        ; implicit-def: $vgpr41
	s_mov_b32 s7, exec_lo
	s_delay_alu instid0(VALU_DEP_1) | instskip(SKIP_2) | instid1(VALU_DEP_3)
	v_and_b32_e32 v118, 0x7f800000, v2
	v_and_b32_e32 v64, 0x7fffff, v2
	v_lshrrev_b32_e32 v3, 24, v2
	v_cmpx_ne_u64_e32 0x7f800000, v[118:119]
	s_xor_b32 s19, exec_lo, s7
	s_cbranch_execz .LBB2_1389
; %bb.1376:                             ;   in Loop: Header=BB2_979 Depth=2
	v_and_b32_e32 v118, 0x7fffffff, v2
	v_mov_b32_e32 v119, v65
	v_and_b32_e32 v30, 0x80, v3
                                        ; implicit-def: $vgpr41
	s_mov_b32 s7, exec_lo
	s_delay_alu instid0(VALU_DEP_2)
	v_cmpx_gt_u64_e32 0x47600001, v[118:119]
	s_xor_b32 s20, exec_lo, s7
	s_cbranch_execz .LBB2_1386
; %bb.1377:                             ;   in Loop: Header=BB2_979 Depth=2
	v_mov_b32_e32 v41, 0
	s_mov_b32 s21, exec_lo
	v_cmpx_ne_u32_e32 0, v2
	s_cbranch_execz .LBB2_1385
; %bb.1378:                             ;   in Loop: Header=BB2_979 Depth=2
	v_bfe_u32 v41, v2, 23, 8
	v_or_b32_e32 v118, 0x800000, v64
	s_delay_alu instid0(VALU_DEP_2) | instskip(SKIP_1) | instid1(VALU_DEP_2)
	v_sub_nc_u32_e32 v2, 0x71, v41
	v_cmp_gt_u32_e32 vcc_lo, 0x72, v41
	v_cndmask_b32_e32 v2, 0, v2, vcc_lo
	v_cmp_eq_u32_e32 vcc_lo, 0, v41
	v_cndmask_b32_e32 v64, v118, v64, vcc_lo
	s_delay_alu instid0(VALU_DEP_3) | instskip(NEXT) | instid1(VALU_DEP_1)
	v_cndmask_b32_e64 v62, v2, 0x70, vcc_lo
	v_dual_add_nc_u32 v2, 21, v62 :: v_dual_add_nc_u32 v119, 20, v62
	s_delay_alu instid0(VALU_DEP_1) | instskip(NEXT) | instid1(VALU_DEP_2)
	v_lshlrev_b64_e64 v[2:3], v2, -1
	v_lshlrev_b64_e64 v[118:119], v119, 1
	s_delay_alu instid0(VALU_DEP_2) | instskip(NEXT) | instid1(VALU_DEP_3)
	v_bfi_b32 v73, v3, 0, 0
	v_bfi_b32 v72, v2, 0, v64
	v_lshrrev_b64 v[2:3], v62, v[64:65]
	s_delay_alu instid0(VALU_DEP_2) | instskip(NEXT) | instid1(VALU_DEP_2)
	v_cmp_eq_u64_e64 s7, v[72:73], v[118:119]
	v_mov_b64_e32 v[118:119], v[2:3]
	s_and_saveexec_b32 s22, s7
; %bb.1379:                             ;   in Loop: Header=BB2_979 Depth=2
	v_bfe_u32 v64, v2, 21, 1
	s_delay_alu instid0(VALU_DEP_1) | instskip(NEXT) | instid1(VALU_DEP_1)
	v_add_nc_u64_e32 v[118:119], v[2:3], v[64:65]
	v_add_nc_u64_e32 v[118:119], -1, v[118:119]
; %bb.1380:                             ;   in Loop: Header=BB2_979 Depth=2
	s_or_b32 exec_lo, exec_lo, s22
	v_add_nc_u32_e32 v3, 0xffffff81, v41
	v_lshrrev_b32_e32 v64, 23, v2
	s_mov_b32 s7, exec_lo
	s_delay_alu instid0(VALU_DEP_2) | instskip(NEXT) | instid1(VALU_DEP_1)
	v_cndmask_b32_e64 v3, v3, 0xffffff82, vcc_lo
	v_add3_u32 v119, v62, v3, v64
	v_and_b32_e32 v3, 0x1fffff, v118
                                        ; implicit-def: $vgpr118
	s_delay_alu instid0(VALU_DEP_1) | instskip(NEXT) | instid1(VALU_DEP_1)
	v_dual_add_nc_u32 v41, 14, v119 :: v_dual_add_nc_u32 v64, v3, v2
                                        ; implicit-def: $vgpr2_vgpr3
	v_cmpx_ne_u32_e32 0, v41
	s_xor_b32 s7, exec_lo, s7
; %bb.1381:                             ;   in Loop: Header=BB2_979 Depth=2
	s_delay_alu instid0(VALU_DEP_2) | instskip(SKIP_1) | instid1(VALU_DEP_1)
	v_cmp_lt_u64_e32 vcc_lo, 0xffffff, v[64:65]
	v_add_nc_u32_e32 v2, 15, v119
	v_cndmask_b32_e32 v118, v41, v2, vcc_lo
	v_cndmask_b32_e64 v2, 0, 1, vcc_lo
	s_delay_alu instid0(VALU_DEP_1)
	v_lshrrev_b64 v[2:3], v2, v[64:65]
; %bb.1382:                             ;   in Loop: Header=BB2_979 Depth=2
	s_and_not1_saveexec_b32 s7, s7
; %bb.1383:                             ;   in Loop: Header=BB2_979 Depth=2
	v_mov_b64_e32 v[2:3], v[64:65]
	v_bfe_u32 v118, v64, 23, 1
; %bb.1384:                             ;   in Loop: Header=BB2_979 Depth=2
	s_or_b32 exec_lo, exec_lo, s7
	s_delay_alu instid0(VALU_DEP_2) | instskip(NEXT) | instid1(VALU_DEP_2)
	v_lshrrev_b64 v[2:3], 21, v[2:3]
	v_cmp_gt_i32_e32 vcc_lo, 32, v118
	v_min_i32_e32 v64, 31, v118
	v_cmp_eq_u32_e64 s7, 0, v118
	s_delay_alu instid0(VALU_DEP_2) | instskip(SKIP_1) | instid1(VALU_DEP_2)
	v_dual_cndmask_b32 v3, 0, v3 :: v_dual_lshlrev_b32 v64, 2, v64
	v_cndmask_b32_e32 v2, 3, v2, vcc_lo
	v_and_b32_e32 v64, 0xfc, v64
	s_delay_alu instid0(VALU_DEP_2) | instskip(NEXT) | instid1(VALU_DEP_2)
	v_cmp_eq_u64_e32 vcc_lo, 0, v[2:3]
	v_and_or_b32 v2, v2, 3, v64
	s_and_b32 s7, s7, vcc_lo
	s_delay_alu instid0(VALU_DEP_1) | instid1(SALU_CYCLE_1)
	v_cndmask_b32_e64 v2, v2, 0, s7
	s_delay_alu instid0(VALU_DEP_1)
	v_or_b32_e32 v41, v2, v30
.LBB2_1385:                             ;   in Loop: Header=BB2_979 Depth=2
	s_or_b32 exec_lo, exec_lo, s21
                                        ; implicit-def: $vgpr30
.LBB2_1386:                             ;   in Loop: Header=BB2_979 Depth=2
	s_and_not1_saveexec_b32 s7, s20
; %bb.1387:                             ;   in Loop: Header=BB2_979 Depth=2
	v_or_b32_e32 v41, 0x7b, v30
; %bb.1388:                             ;   in Loop: Header=BB2_979 Depth=2
	s_or_b32 exec_lo, exec_lo, s7
                                        ; implicit-def: $vgpr2
                                        ; implicit-def: $vgpr3
.LBB2_1389:                             ;   in Loop: Header=BB2_979 Depth=2
	s_and_not1_saveexec_b32 s7, s19
	s_cbranch_execz .LBB2_1395
; %bb.1390:                             ;   in Loop: Header=BB2_979 Depth=2
	s_mov_b32 s19, exec_lo
                                        ; implicit-def: $vgpr41
	v_cmpx_ne_u64_e32 0, v[64:65]
	s_xor_b32 s19, exec_lo, s19
; %bb.1391:                             ;   in Loop: Header=BB2_979 Depth=2
	v_or_b32_e32 v41, 0x7f, v3
                                        ; implicit-def: $vgpr2
; %bb.1392:                             ;   in Loop: Header=BB2_979 Depth=2
	s_and_not1_saveexec_b32 s19, s19
; %bb.1393:                             ;   in Loop: Header=BB2_979 Depth=2
	v_cmp_lt_i32_e32 vcc_lo, -1, v2
	v_cndmask_b32_e32 v41, 0xfc, v59, vcc_lo
; %bb.1394:                             ;   in Loop: Header=BB2_979 Depth=2
	s_or_b32 exec_lo, exec_lo, s19
.LBB2_1395:                             ;   in Loop: Header=BB2_979 Depth=2
	s_delay_alu instid0(SALU_CYCLE_1) | instskip(SKIP_2) | instid1(VALU_DEP_2)
	s_or_b32 exec_lo, exec_lo, s7
	v_and_b32_e32 v3, 0xff, v4
	v_mov_b32_e32 v2, 0
	v_cmp_ne_u16_e32 vcc_lo, 0, v3
	v_mov_b32_e32 v3, 0
	s_and_saveexec_b32 s7, vcc_lo
	s_cbranch_execz .LBB2_1405
; %bb.1396:                             ;   in Loop: Header=BB2_979 Depth=2
	v_bfe_i32 v64, v4, 0, 8
	v_bfrev_b32_e32 v3, 1
	s_mov_b32 s19, exec_lo
	s_delay_alu instid0(VALU_DEP_2)
	v_cmpx_ne_u16_e32 0xff80, v64
	s_cbranch_execz .LBB2_1404
; %bb.1397:                             ;   in Loop: Header=BB2_979 Depth=2
	v_and_b32_e32 v3, 0x7c, v4
	v_and_b32_e32 v30, 3, v4
	s_delay_alu instid0(VALU_DEP_2) | instskip(SKIP_1) | instid1(SALU_CYCLE_1)
	v_cmp_ne_u32_e32 vcc_lo, 0x7c, v3
                                        ; implicit-def: $vgpr3
	s_and_saveexec_b32 s20, vcc_lo
	s_xor_b32 s20, exec_lo, s20
	s_cbranch_execz .LBB2_1401
; %bb.1398:                             ;   in Loop: Header=BB2_979 Depth=2
	v_bfe_u32 v3, v4, 2, 5
	s_mov_b32 s21, exec_lo
	s_delay_alu instid0(VALU_DEP_1)
	v_cmpx_eq_u32_e32 0, v3
; %bb.1399:                             ;   in Loop: Header=BB2_979 Depth=2
	v_clz_i32_u32_e32 v3, v30
	s_delay_alu instid0(VALU_DEP_1) | instskip(NEXT) | instid1(VALU_DEP_1)
	v_min_u32_e32 v3, 32, v3
	v_subrev_nc_u32_e32 v30, 29, v3
	s_delay_alu instid0(VALU_DEP_1) | instskip(NEXT) | instid1(VALU_DEP_1)
	v_lshlrev_b64_e32 v[118:119], v30, v[4:5]
	v_dual_sub_nc_u32 v3, 30, v3 :: v_dual_bitop2_b32 v30, 3, v118 bitop3:0x40
; %bb.1400:                             ;   in Loop: Header=BB2_979 Depth=2
	s_or_b32 exec_lo, exec_lo, s21
	v_lshlrev_b32_e32 v5, 24, v4
                                        ; implicit-def: $vgpr64
	s_delay_alu instid0(VALU_DEP_1) | instskip(NEXT) | instid1(VALU_DEP_1)
	v_and_b32_e32 v5, 0x80000000, v5
	v_lshl_add_u32 v3, v3, 23, v5
	s_delay_alu instid0(VALU_DEP_1) | instskip(NEXT) | instid1(VALU_DEP_1)
	v_lshl_or_b32 v3, v30, 21, v3
                                        ; implicit-def: $vgpr30
	v_add_nc_u32_e32 v3, 0x38000000, v3
.LBB2_1401:                             ;   in Loop: Header=BB2_979 Depth=2
	s_and_not1_saveexec_b32 s20, s20
; %bb.1402:                             ;   in Loop: Header=BB2_979 Depth=2
	v_cmp_lt_i16_e32 vcc_lo, -1, v64
	v_cndmask_b32_e32 v3, 0xff800000, v21, vcc_lo
	v_cmp_eq_u32_e32 vcc_lo, 0, v30
	s_delay_alu instid0(VALU_DEP_2)
	v_cndmask_b32_e32 v3, 0x7f800001, v3, vcc_lo
; %bb.1403:                             ;   in Loop: Header=BB2_979 Depth=2
	s_or_b32 exec_lo, exec_lo, s20
.LBB2_1404:                             ;   in Loop: Header=BB2_979 Depth=2
	s_delay_alu instid0(SALU_CYCLE_1)
	s_or_b32 exec_lo, exec_lo, s19
.LBB2_1405:                             ;   in Loop: Header=BB2_979 Depth=2
	s_delay_alu instid0(SALU_CYCLE_1) | instskip(SKIP_3) | instid1(VALU_DEP_1)
	s_or_b32 exec_lo, exec_lo, s7
	v_dual_lshlrev_b32 v30, 24, v47 :: v_dual_lshlrev_b32 v64, 16, v46
	v_lshl_or_b32 v5, v45, 8, v43
	s_mov_b32 s7, exec_lo
	v_or3_b32 v64, v64, v30, v5
	v_cmpx_ne_u32_e32 0, v43
	s_cbranch_execz .LBB2_1415
; %bb.1406:                             ;   in Loop: Header=BB2_979 Depth=2
	v_bfrev_b32_e32 v2, 1
	s_mov_b32 s19, exec_lo
	v_cmpx_ne_u32_e32 0x80, v43
	s_cbranch_execz .LBB2_1414
; %bb.1407:                             ;   in Loop: Header=BB2_979 Depth=2
	v_and_b32_e32 v2, 0x7c, v43
	v_and_b32_e32 v30, 3, v43
	s_delay_alu instid0(VALU_DEP_2) | instskip(SKIP_1) | instid1(SALU_CYCLE_1)
	v_cmp_ne_u32_e32 vcc_lo, 0x7c, v2
                                        ; implicit-def: $vgpr2
	s_and_saveexec_b32 s20, vcc_lo
	s_xor_b32 s20, exec_lo, s20
	s_cbranch_execz .LBB2_1411
; %bb.1408:                             ;   in Loop: Header=BB2_979 Depth=2
	v_bfe_u32 v2, v43, 2, 5
	s_mov_b32 s21, exec_lo
	s_delay_alu instid0(VALU_DEP_1)
	v_cmpx_eq_u32_e32 0, v2
; %bb.1409:                             ;   in Loop: Header=BB2_979 Depth=2
	v_clz_i32_u32_e32 v2, v30
	s_delay_alu instid0(VALU_DEP_1) | instskip(NEXT) | instid1(VALU_DEP_1)
	v_min_u32_e32 v2, 32, v2
	v_subrev_nc_u32_e32 v30, 29, v2
	v_sub_nc_u32_e32 v2, 30, v2
	s_delay_alu instid0(VALU_DEP_2) | instskip(NEXT) | instid1(VALU_DEP_1)
	v_lshlrev_b64_e32 v[118:119], v30, v[64:65]
	v_and_b32_e32 v30, 3, v118
; %bb.1410:                             ;   in Loop: Header=BB2_979 Depth=2
	s_or_b32 exec_lo, exec_lo, s21
	v_lshlrev_b32_e32 v118, 24, v43
                                        ; implicit-def: $vgpr43
	s_delay_alu instid0(VALU_DEP_1) | instskip(NEXT) | instid1(VALU_DEP_1)
	v_and_b32_e32 v118, 0x80000000, v118
	v_lshl_add_u32 v2, v2, 23, v118
	s_delay_alu instid0(VALU_DEP_1) | instskip(NEXT) | instid1(VALU_DEP_1)
	v_lshl_or_b32 v2, v30, 21, v2
                                        ; implicit-def: $vgpr30
	v_add_nc_u32_e32 v2, 0x38000000, v2
.LBB2_1411:                             ;   in Loop: Header=BB2_979 Depth=2
	s_and_not1_saveexec_b32 s20, s20
; %bb.1412:                             ;   in Loop: Header=BB2_979 Depth=2
	v_and_b32_e32 v2, 0x80, v43
	s_delay_alu instid0(VALU_DEP_1) | instskip(SKIP_2) | instid1(VALU_DEP_2)
	v_cmp_eq_u32_e32 vcc_lo, 0, v2
	v_cndmask_b32_e32 v2, 0xff800000, v21, vcc_lo
	v_cmp_eq_u32_e32 vcc_lo, 0, v30
	v_cndmask_b32_e32 v2, 0x7f800001, v2, vcc_lo
; %bb.1413:                             ;   in Loop: Header=BB2_979 Depth=2
	s_or_b32 exec_lo, exec_lo, s20
.LBB2_1414:                             ;   in Loop: Header=BB2_979 Depth=2
	s_delay_alu instid0(SALU_CYCLE_1)
	s_or_b32 exec_lo, exec_lo, s19
.LBB2_1415:                             ;   in Loop: Header=BB2_979 Depth=2
	s_delay_alu instid0(SALU_CYCLE_1) | instskip(NEXT) | instid1(VALU_DEP_1)
	s_or_b32 exec_lo, exec_lo, s7
	v_dual_add_f32 v118, v3, v2 :: v_dual_mov_b32 v47, v65
	v_mov_b32_e32 v3, v65
                                        ; implicit-def: $vgpr43
	s_mov_b32 s7, exec_lo
	s_delay_alu instid0(VALU_DEP_2) | instskip(SKIP_2) | instid1(VALU_DEP_3)
	v_and_b32_e32 v46, 0x7f800000, v118
	v_and_b32_e32 v2, 0x7fffff, v118
	v_lshrrev_b32_e32 v30, 24, v118
	v_cmpx_ne_u64_e32 0x7f800000, v[46:47]
	s_xor_b32 s19, exec_lo, s7
	s_cbranch_execz .LBB2_1429
; %bb.1416:                             ;   in Loop: Header=BB2_979 Depth=2
	v_and_b32_e32 v46, 0x7fffffff, v118
	v_mov_b32_e32 v47, v65
	v_and_b32_e32 v30, 0x80, v30
                                        ; implicit-def: $vgpr43
	s_mov_b32 s7, exec_lo
	s_delay_alu instid0(VALU_DEP_2)
	v_cmpx_gt_u64_e32 0x47600001, v[46:47]
	s_xor_b32 s20, exec_lo, s7
	s_cbranch_execz .LBB2_1426
; %bb.1417:                             ;   in Loop: Header=BB2_979 Depth=2
	v_mov_b32_e32 v43, 0
	s_mov_b32 s21, exec_lo
	v_cmpx_ne_u32_e32 0, v118
	s_cbranch_execz .LBB2_1425
; %bb.1418:                             ;   in Loop: Header=BB2_979 Depth=2
	v_bfe_u32 v43, v118, 23, 8
	v_or_b32_e32 v46, 0x800000, v2
	s_delay_alu instid0(VALU_DEP_2) | instskip(SKIP_1) | instid1(VALU_DEP_2)
	v_sub_nc_u32_e32 v118, 0x71, v43
	v_cmp_gt_u32_e32 vcc_lo, 0x72, v43
	v_cndmask_b32_e32 v118, 0, v118, vcc_lo
	v_cmp_eq_u32_e32 vcc_lo, 0, v43
	s_delay_alu instid0(VALU_DEP_2) | instskip(NEXT) | instid1(VALU_DEP_1)
	v_cndmask_b32_e64 v45, v118, 0x70, vcc_lo
	v_dual_cndmask_b32 v2, v46, v2, vcc_lo :: v_dual_add_nc_u32 v118, 21, v45
	v_add_nc_u32_e32 v47, 20, v45
	s_delay_alu instid0(VALU_DEP_2) | instskip(NEXT) | instid1(VALU_DEP_2)
	v_lshlrev_b64_e64 v[118:119], v118, -1
	v_lshlrev_b64_e64 v[46:47], v47, 1
	s_delay_alu instid0(VALU_DEP_2) | instskip(SKIP_1) | instid1(VALU_DEP_4)
	v_bfi_b32 v118, v118, 0, v2
	v_lshrrev_b64 v[2:3], v45, v[2:3]
	v_bfi_b32 v119, v119, 0, 0
	s_delay_alu instid0(VALU_DEP_1) | instskip(NEXT) | instid1(VALU_DEP_3)
	v_cmp_eq_u64_e64 s7, v[118:119], v[46:47]
	v_mov_b64_e32 v[118:119], v[2:3]
	s_and_saveexec_b32 s22, s7
; %bb.1419:                             ;   in Loop: Header=BB2_979 Depth=2
	v_bfe_u32 v118, v2, 21, 1
	v_mov_b32_e32 v119, v65
	s_delay_alu instid0(VALU_DEP_1) | instskip(NEXT) | instid1(VALU_DEP_1)
	v_add_nc_u64_e32 v[118:119], v[2:3], v[118:119]
	v_add_nc_u64_e32 v[118:119], -1, v[118:119]
; %bb.1420:                             ;   in Loop: Header=BB2_979 Depth=2
	s_or_b32 exec_lo, exec_lo, s22
	v_add_nc_u32_e32 v3, 0xffffff81, v43
	v_lshrrev_b32_e32 v119, 23, v2
	s_mov_b32 s7, exec_lo
	s_delay_alu instid0(VALU_DEP_2) | instskip(NEXT) | instid1(VALU_DEP_1)
	v_cndmask_b32_e64 v3, v3, 0xffffff82, vcc_lo
	v_add3_u32 v119, v45, v3, v119
	v_and_b32_e32 v3, 0x1fffff, v118
                                        ; implicit-def: $vgpr118
	s_delay_alu instid0(VALU_DEP_1) | instskip(SKIP_1) | instid1(VALU_DEP_2)
	v_dual_add_nc_u32 v43, 14, v119 :: v_dual_add_nc_u32 v2, v3, v2
	v_mov_b32_e32 v3, v65
	v_cmpx_ne_u32_e32 0, v43
	s_xor_b32 s7, exec_lo, s7
; %bb.1421:                             ;   in Loop: Header=BB2_979 Depth=2
	s_delay_alu instid0(VALU_DEP_2) | instskip(SKIP_2) | instid1(VALU_DEP_2)
	v_cmp_lt_u64_e32 vcc_lo, 0xffffff, v[2:3]
	v_add_nc_u32_e32 v118, 15, v119
	v_cndmask_b32_e64 v119, 0, 1, vcc_lo
	v_cndmask_b32_e32 v118, v43, v118, vcc_lo
	s_delay_alu instid0(VALU_DEP_2)
	v_lshrrev_b64 v[2:3], v119, v[2:3]
; %bb.1422:                             ;   in Loop: Header=BB2_979 Depth=2
	s_and_not1_saveexec_b32 s7, s7
; %bb.1423:                             ;   in Loop: Header=BB2_979 Depth=2
	s_delay_alu instid0(VALU_DEP_1)
	v_bfe_u32 v118, v2, 23, 1
; %bb.1424:                             ;   in Loop: Header=BB2_979 Depth=2
	s_or_b32 exec_lo, exec_lo, s7
	s_delay_alu instid0(VALU_DEP_2) | instskip(NEXT) | instid1(VALU_DEP_2)
	v_lshrrev_b64 v[2:3], 21, v[2:3]
	v_cmp_gt_i32_e32 vcc_lo, 32, v118
	v_min_i32_e32 v119, 31, v118
	v_cmp_eq_u32_e64 s7, 0, v118
	s_delay_alu instid0(VALU_DEP_4) | instskip(NEXT) | instid1(VALU_DEP_3)
	v_cndmask_b32_e32 v3, 0, v3, vcc_lo
	v_dual_cndmask_b32 v2, 3, v2 :: v_dual_lshlrev_b32 v119, 2, v119
	s_delay_alu instid0(VALU_DEP_1) | instskip(NEXT) | instid1(VALU_DEP_2)
	v_and_b32_e32 v119, 0xfc, v119
	v_cmp_eq_u64_e32 vcc_lo, 0, v[2:3]
	s_delay_alu instid0(VALU_DEP_2)
	v_and_or_b32 v2, v2, 3, v119
	s_and_b32 s7, s7, vcc_lo
	s_delay_alu instid0(VALU_DEP_1) | instid1(SALU_CYCLE_1)
	v_cndmask_b32_e64 v2, v2, 0, s7
	s_delay_alu instid0(VALU_DEP_1)
	v_or_b32_e32 v43, v2, v30
.LBB2_1425:                             ;   in Loop: Header=BB2_979 Depth=2
	s_or_b32 exec_lo, exec_lo, s21
                                        ; implicit-def: $vgpr30
.LBB2_1426:                             ;   in Loop: Header=BB2_979 Depth=2
	s_and_not1_saveexec_b32 s7, s20
; %bb.1427:                             ;   in Loop: Header=BB2_979 Depth=2
	v_or_b32_e32 v43, 0x7b, v30
; %bb.1428:                             ;   in Loop: Header=BB2_979 Depth=2
	s_or_b32 exec_lo, exec_lo, s7
                                        ; implicit-def: $vgpr118
                                        ; implicit-def: $vgpr2_vgpr3
                                        ; implicit-def: $vgpr30
.LBB2_1429:                             ;   in Loop: Header=BB2_979 Depth=2
	s_and_not1_saveexec_b32 s7, s19
	s_cbranch_execz .LBB2_1435
; %bb.1430:                             ;   in Loop: Header=BB2_979 Depth=2
	s_mov_b32 s19, exec_lo
                                        ; implicit-def: $vgpr43
	v_cmpx_ne_u64_e32 0, v[2:3]
	s_xor_b32 s19, exec_lo, s19
; %bb.1431:                             ;   in Loop: Header=BB2_979 Depth=2
	v_or_b32_e32 v43, 0x7f, v30
                                        ; implicit-def: $vgpr118
; %bb.1432:                             ;   in Loop: Header=BB2_979 Depth=2
	s_and_not1_saveexec_b32 s19, s19
; %bb.1433:                             ;   in Loop: Header=BB2_979 Depth=2
	v_cmp_lt_i32_e32 vcc_lo, -1, v118
	v_cndmask_b32_e32 v43, 0xfc, v59, vcc_lo
; %bb.1434:                             ;   in Loop: Header=BB2_979 Depth=2
	s_or_b32 exec_lo, exec_lo, s19
.LBB2_1435:                             ;   in Loop: Header=BB2_979 Depth=2
	s_delay_alu instid0(SALU_CYCLE_1) | instskip(SKIP_3) | instid1(VALU_DEP_2)
	s_or_b32 exec_lo, exec_lo, s7
	v_lshrrev_b16 v2, 8, v4
	v_dual_mov_b32 v30, 0 :: v_dual_mov_b32 v118, 0
	s_mov_b32 s7, exec_lo
	v_cmpx_ne_u16_e32 0, v2
	s_cbranch_execz .LBB2_1445
; %bb.1436:                             ;   in Loop: Header=BB2_979 Depth=2
	v_bfrev_b32_e32 v118, 1
	s_mov_b32 s19, exec_lo
	v_cmpx_ne_u16_e32 0x80, v2
	s_cbranch_execz .LBB2_1444
; %bb.1437:                             ;   in Loop: Header=BB2_979 Depth=2
	v_and_b32_e32 v119, 0xffff, v2
	s_delay_alu instid0(VALU_DEP_1) | instskip(SKIP_1) | instid1(VALU_DEP_2)
	v_and_b32_e32 v118, 0x7c, v119
	v_and_b32_e32 v3, 3, v119
	v_cmp_ne_u32_e32 vcc_lo, 0x7c, v118
                                        ; implicit-def: $vgpr118
	s_and_saveexec_b32 s20, vcc_lo
	s_delay_alu instid0(SALU_CYCLE_1)
	s_xor_b32 s20, exec_lo, s20
	s_cbranch_execz .LBB2_1441
; %bb.1438:                             ;   in Loop: Header=BB2_979 Depth=2
	v_bfe_u32 v118, v119, 2, 5
	s_mov_b32 s21, exec_lo
	s_delay_alu instid0(VALU_DEP_1)
	v_cmpx_eq_u32_e32 0, v118
	s_cbranch_execz .LBB2_1440
; %bb.1439:                             ;   in Loop: Header=BB2_979 Depth=2
	v_clz_i32_u32_e32 v3, v3
	s_delay_alu instid0(VALU_DEP_1) | instskip(SKIP_1) | instid1(VALU_DEP_2)
	v_min_u32_e32 v118, 32, v3
	v_mov_b32_e32 v3, v65
	v_subrev_nc_u32_e32 v119, 29, v118
	v_sub_nc_u32_e32 v118, 30, v118
	s_delay_alu instid0(VALU_DEP_2) | instskip(NEXT) | instid1(VALU_DEP_1)
	v_lshlrev_b64_e32 v[2:3], v119, v[2:3]
	v_and_b32_e32 v3, 3, v2
.LBB2_1440:                             ;   in Loop: Header=BB2_979 Depth=2
	s_or_b32 exec_lo, exec_lo, s21
	v_lshlrev_b32_e32 v2, 16, v4
	s_delay_alu instid0(VALU_DEP_1) | instskip(NEXT) | instid1(VALU_DEP_1)
	v_and_b32_e32 v2, 0x80000000, v2
	v_lshl_add_u32 v2, v118, 23, v2
	s_delay_alu instid0(VALU_DEP_1) | instskip(NEXT) | instid1(VALU_DEP_1)
	v_lshl_or_b32 v2, v3, 21, v2
                                        ; implicit-def: $vgpr3
	v_add_nc_u32_e32 v118, 0x38000000, v2
.LBB2_1441:                             ;   in Loop: Header=BB2_979 Depth=2
	s_and_not1_saveexec_b32 s20, s20
; %bb.1442:                             ;   in Loop: Header=BB2_979 Depth=2
	v_cmp_lt_i16_e32 vcc_lo, -1, v4
	v_cndmask_b32_e32 v2, 0xff800000, v21, vcc_lo
	v_cmp_eq_u32_e32 vcc_lo, 0, v3
	s_delay_alu instid0(VALU_DEP_2)
	v_cndmask_b32_e32 v118, 0x7f800001, v2, vcc_lo
; %bb.1443:                             ;   in Loop: Header=BB2_979 Depth=2
	s_or_b32 exec_lo, exec_lo, s20
.LBB2_1444:                             ;   in Loop: Header=BB2_979 Depth=2
	s_delay_alu instid0(SALU_CYCLE_1)
	s_or_b32 exec_lo, exec_lo, s19
.LBB2_1445:                             ;   in Loop: Header=BB2_979 Depth=2
	s_delay_alu instid0(SALU_CYCLE_1) | instskip(SKIP_2) | instid1(VALU_DEP_1)
	s_or_b32 exec_lo, exec_lo, s7
	v_lshrrev_b16 v2, 8, v5
	s_mov_b32 s7, exec_lo
	v_cmpx_ne_u16_e32 0, v2
	s_cbranch_execz .LBB2_1455
; %bb.1446:                             ;   in Loop: Header=BB2_979 Depth=2
	v_bfrev_b32_e32 v30, 1
	s_mov_b32 s19, exec_lo
	v_cmpx_ne_u16_e32 0x80, v2
	s_cbranch_execz .LBB2_1454
; %bb.1447:                             ;   in Loop: Header=BB2_979 Depth=2
	v_and_b32_e32 v119, 0xffff, v2
	s_delay_alu instid0(VALU_DEP_1) | instskip(SKIP_1) | instid1(VALU_DEP_2)
	v_and_b32_e32 v30, 0x7c, v119
	v_and_b32_e32 v3, 3, v119
	v_cmp_ne_u32_e32 vcc_lo, 0x7c, v30
                                        ; implicit-def: $vgpr30
	s_and_saveexec_b32 s20, vcc_lo
	s_delay_alu instid0(SALU_CYCLE_1)
	s_xor_b32 s20, exec_lo, s20
	s_cbranch_execz .LBB2_1451
; %bb.1448:                             ;   in Loop: Header=BB2_979 Depth=2
	v_bfe_u32 v30, v119, 2, 5
	s_mov_b32 s21, exec_lo
	s_delay_alu instid0(VALU_DEP_1)
	v_cmpx_eq_u32_e32 0, v30
	s_cbranch_execz .LBB2_1450
; %bb.1449:                             ;   in Loop: Header=BB2_979 Depth=2
	v_clz_i32_u32_e32 v3, v3
	s_delay_alu instid0(VALU_DEP_1) | instskip(SKIP_1) | instid1(VALU_DEP_2)
	v_min_u32_e32 v30, 32, v3
	v_mov_b32_e32 v3, v65
	v_subrev_nc_u32_e32 v119, 29, v30
	v_sub_nc_u32_e32 v30, 30, v30
	s_delay_alu instid0(VALU_DEP_2) | instskip(NEXT) | instid1(VALU_DEP_1)
	v_lshlrev_b64_e32 v[2:3], v119, v[2:3]
	v_and_b32_e32 v3, 3, v2
.LBB2_1450:                             ;   in Loop: Header=BB2_979 Depth=2
	s_or_b32 exec_lo, exec_lo, s21
	v_lshlrev_b32_e32 v2, 16, v5
                                        ; implicit-def: $vgpr5
	s_delay_alu instid0(VALU_DEP_1) | instskip(NEXT) | instid1(VALU_DEP_1)
	v_and_b32_e32 v2, 0x80000000, v2
	v_lshl_add_u32 v2, v30, 23, v2
	s_delay_alu instid0(VALU_DEP_1) | instskip(NEXT) | instid1(VALU_DEP_1)
	v_lshl_or_b32 v2, v3, 21, v2
                                        ; implicit-def: $vgpr3
	v_add_nc_u32_e32 v30, 0x38000000, v2
.LBB2_1451:                             ;   in Loop: Header=BB2_979 Depth=2
	s_and_not1_saveexec_b32 s20, s20
; %bb.1452:                             ;   in Loop: Header=BB2_979 Depth=2
	v_cmp_lt_i16_e32 vcc_lo, -1, v5
	v_cndmask_b32_e32 v2, 0xff800000, v21, vcc_lo
	v_cmp_eq_u32_e32 vcc_lo, 0, v3
	s_delay_alu instid0(VALU_DEP_2)
	v_cndmask_b32_e32 v30, 0x7f800001, v2, vcc_lo
; %bb.1453:                             ;   in Loop: Header=BB2_979 Depth=2
	s_or_b32 exec_lo, exec_lo, s20
.LBB2_1454:                             ;   in Loop: Header=BB2_979 Depth=2
	s_delay_alu instid0(SALU_CYCLE_1)
	s_or_b32 exec_lo, exec_lo, s19
.LBB2_1455:                             ;   in Loop: Header=BB2_979 Depth=2
	s_delay_alu instid0(SALU_CYCLE_1) | instskip(NEXT) | instid1(VALU_DEP_1)
	s_or_b32 exec_lo, exec_lo, s7
	v_dual_add_f32 v30, v118, v30 :: v_dual_mov_b32 v119, v65
	v_mov_b32_e32 v3, v65
                                        ; implicit-def: $vgpr45
	s_mov_b32 s7, exec_lo
	s_delay_alu instid0(VALU_DEP_2) | instskip(SKIP_2) | instid1(VALU_DEP_3)
	v_and_b32_e32 v118, 0x7f800000, v30
	v_and_b32_e32 v2, 0x7fffff, v30
	v_lshrrev_b32_e32 v5, 24, v30
	v_cmpx_ne_u64_e32 0x7f800000, v[118:119]
	s_xor_b32 s19, exec_lo, s7
	s_cbranch_execz .LBB2_1469
; %bb.1456:                             ;   in Loop: Header=BB2_979 Depth=2
	v_and_b32_e32 v118, 0x7fffffff, v30
	v_mov_b32_e32 v119, v65
	v_and_b32_e32 v5, 0x80, v5
                                        ; implicit-def: $vgpr45
	s_mov_b32 s7, exec_lo
	s_delay_alu instid0(VALU_DEP_2)
	v_cmpx_gt_u64_e32 0x47600001, v[118:119]
	s_xor_b32 s20, exec_lo, s7
	s_cbranch_execz .LBB2_1466
; %bb.1457:                             ;   in Loop: Header=BB2_979 Depth=2
	v_mov_b32_e32 v45, 0
	s_mov_b32 s21, exec_lo
	v_cmpx_ne_u32_e32 0, v30
	s_cbranch_execz .LBB2_1465
; %bb.1458:                             ;   in Loop: Header=BB2_979 Depth=2
	v_bfe_u32 v30, v30, 23, 8
	v_or_b32_e32 v46, 0x800000, v2
	s_delay_alu instid0(VALU_DEP_2) | instskip(SKIP_1) | instid1(VALU_DEP_2)
	v_sub_nc_u32_e32 v118, 0x71, v30
	v_cmp_gt_u32_e32 vcc_lo, 0x72, v30
	v_cndmask_b32_e32 v118, 0, v118, vcc_lo
	v_cmp_eq_u32_e32 vcc_lo, 0, v30
	s_delay_alu instid0(VALU_DEP_2) | instskip(NEXT) | instid1(VALU_DEP_1)
	v_cndmask_b32_e64 v45, v118, 0x70, vcc_lo
	v_dual_cndmask_b32 v2, v46, v2, vcc_lo :: v_dual_add_nc_u32 v118, 21, v45
	v_add_nc_u32_e32 v47, 20, v45
	s_delay_alu instid0(VALU_DEP_2) | instskip(NEXT) | instid1(VALU_DEP_2)
	v_lshlrev_b64_e64 v[118:119], v118, -1
	v_lshlrev_b64_e64 v[46:47], v47, 1
	s_delay_alu instid0(VALU_DEP_2) | instskip(SKIP_1) | instid1(VALU_DEP_4)
	v_bfi_b32 v118, v118, 0, v2
	v_lshrrev_b64 v[2:3], v45, v[2:3]
	v_bfi_b32 v119, v119, 0, 0
	s_delay_alu instid0(VALU_DEP_1) | instskip(NEXT) | instid1(VALU_DEP_3)
	v_cmp_eq_u64_e64 s7, v[118:119], v[46:47]
	v_mov_b64_e32 v[118:119], v[2:3]
	s_and_saveexec_b32 s22, s7
; %bb.1459:                             ;   in Loop: Header=BB2_979 Depth=2
	v_bfe_u32 v118, v2, 21, 1
	v_mov_b32_e32 v119, v65
	s_delay_alu instid0(VALU_DEP_1) | instskip(NEXT) | instid1(VALU_DEP_1)
	v_add_nc_u64_e32 v[118:119], v[2:3], v[118:119]
	v_add_nc_u64_e32 v[118:119], -1, v[118:119]
; %bb.1460:                             ;   in Loop: Header=BB2_979 Depth=2
	s_or_b32 exec_lo, exec_lo, s22
	v_add_nc_u32_e32 v3, 0xffffff81, v30
	v_lshrrev_b32_e32 v30, 23, v2
	s_mov_b32 s7, exec_lo
	s_delay_alu instid0(VALU_DEP_2) | instskip(NEXT) | instid1(VALU_DEP_1)
	v_cndmask_b32_e64 v3, v3, 0xffffff82, vcc_lo
	v_add3_u32 v119, v45, v3, v30
	v_and_b32_e32 v3, 0x1fffff, v118
                                        ; implicit-def: $vgpr30
	s_delay_alu instid0(VALU_DEP_1) | instskip(SKIP_1) | instid1(VALU_DEP_2)
	v_dual_add_nc_u32 v118, 14, v119 :: v_dual_add_nc_u32 v2, v3, v2
	v_mov_b32_e32 v3, v65
	v_cmpx_ne_u32_e32 0, v118
	s_xor_b32 s7, exec_lo, s7
; %bb.1461:                             ;   in Loop: Header=BB2_979 Depth=2
	s_delay_alu instid0(VALU_DEP_2) | instskip(SKIP_1) | instid1(VALU_DEP_1)
	v_cmp_lt_u64_e32 vcc_lo, 0xffffff, v[2:3]
	v_add_nc_u32_e32 v30, 15, v119
	v_cndmask_b32_e32 v30, v118, v30, vcc_lo
	v_cndmask_b32_e64 v118, 0, 1, vcc_lo
	s_delay_alu instid0(VALU_DEP_1)
	v_lshrrev_b64 v[2:3], v118, v[2:3]
; %bb.1462:                             ;   in Loop: Header=BB2_979 Depth=2
	s_and_not1_saveexec_b32 s7, s7
; %bb.1463:                             ;   in Loop: Header=BB2_979 Depth=2
	s_delay_alu instid0(VALU_DEP_1)
	v_bfe_u32 v30, v2, 23, 1
; %bb.1464:                             ;   in Loop: Header=BB2_979 Depth=2
	s_or_b32 exec_lo, exec_lo, s7
	s_delay_alu instid0(VALU_DEP_2) | instskip(NEXT) | instid1(VALU_DEP_2)
	v_lshrrev_b64 v[2:3], 21, v[2:3]
	v_cmp_gt_i32_e32 vcc_lo, 32, v30
	v_min_i32_e32 v118, 31, v30
	v_cmp_eq_u32_e64 s7, 0, v30
	s_delay_alu instid0(VALU_DEP_2) | instskip(SKIP_1) | instid1(VALU_DEP_2)
	v_dual_cndmask_b32 v3, 0, v3 :: v_dual_lshlrev_b32 v118, 2, v118
	v_cndmask_b32_e32 v2, 3, v2, vcc_lo
	v_and_b32_e32 v118, 0xfc, v118
	s_delay_alu instid0(VALU_DEP_2) | instskip(NEXT) | instid1(VALU_DEP_2)
	v_cmp_eq_u64_e32 vcc_lo, 0, v[2:3]
	v_and_or_b32 v2, v2, 3, v118
	s_and_b32 s7, s7, vcc_lo
	s_delay_alu instid0(VALU_DEP_1) | instid1(SALU_CYCLE_1)
	v_cndmask_b32_e64 v2, v2, 0, s7
	s_delay_alu instid0(VALU_DEP_1)
	v_or_b32_e32 v45, v2, v5
.LBB2_1465:                             ;   in Loop: Header=BB2_979 Depth=2
	s_or_b32 exec_lo, exec_lo, s21
                                        ; implicit-def: $vgpr5
.LBB2_1466:                             ;   in Loop: Header=BB2_979 Depth=2
	s_and_not1_saveexec_b32 s7, s20
; %bb.1467:                             ;   in Loop: Header=BB2_979 Depth=2
	v_or_b32_e32 v45, 0x7b, v5
; %bb.1468:                             ;   in Loop: Header=BB2_979 Depth=2
	s_or_b32 exec_lo, exec_lo, s7
                                        ; implicit-def: $vgpr30
                                        ; implicit-def: $vgpr2_vgpr3
                                        ; implicit-def: $vgpr5
.LBB2_1469:                             ;   in Loop: Header=BB2_979 Depth=2
	s_and_not1_saveexec_b32 s7, s19
	s_cbranch_execz .LBB2_1475
; %bb.1470:                             ;   in Loop: Header=BB2_979 Depth=2
	s_mov_b32 s19, exec_lo
                                        ; implicit-def: $vgpr45
	v_cmpx_ne_u64_e32 0, v[2:3]
	s_xor_b32 s19, exec_lo, s19
; %bb.1471:                             ;   in Loop: Header=BB2_979 Depth=2
	v_or_b32_e32 v45, 0x7f, v5
                                        ; implicit-def: $vgpr30
; %bb.1472:                             ;   in Loop: Header=BB2_979 Depth=2
	s_and_not1_saveexec_b32 s19, s19
; %bb.1473:                             ;   in Loop: Header=BB2_979 Depth=2
	v_cmp_lt_i32_e32 vcc_lo, -1, v30
	v_cndmask_b32_e32 v45, 0xfc, v59, vcc_lo
; %bb.1474:                             ;   in Loop: Header=BB2_979 Depth=2
	s_or_b32 exec_lo, exec_lo, s19
.LBB2_1475:                             ;   in Loop: Header=BB2_979 Depth=2
	s_delay_alu instid0(SALU_CYCLE_1) | instskip(SKIP_3) | instid1(VALU_DEP_2)
	s_or_b32 exec_lo, exec_lo, s7
	v_dual_mov_b32 v3, 0 :: v_dual_lshrrev_b32 v2, 16, v4
	v_mov_b32_e32 v5, 0
	s_mov_b32 s7, exec_lo
	v_and_b32_e32 v30, 0xff, v2
	s_delay_alu instid0(VALU_DEP_1)
	v_cmpx_ne_u16_e32 0, v30
	s_cbranch_execz .LBB2_1485
; %bb.1476:                             ;   in Loop: Header=BB2_979 Depth=2
	v_bfrev_b32_e32 v5, 1
	s_mov_b32 s19, exec_lo
	v_cmpx_ne_u16_e32 0x80, v30
	s_cbranch_execz .LBB2_1484
; %bb.1477:                             ;   in Loop: Header=BB2_979 Depth=2
	v_and_b32_e32 v5, 0x7c0000, v4
	v_bfe_u32 v30, v4, 16, 2
	s_delay_alu instid0(VALU_DEP_2) | instskip(SKIP_1) | instid1(SALU_CYCLE_1)
	v_cmp_ne_u32_e32 vcc_lo, 0x7c0000, v5
                                        ; implicit-def: $vgpr5
	s_and_saveexec_b32 s20, vcc_lo
	s_xor_b32 s20, exec_lo, s20
	s_cbranch_execz .LBB2_1481
; %bb.1478:                             ;   in Loop: Header=BB2_979 Depth=2
	v_bfe_u32 v5, v4, 18, 5
	s_mov_b32 s21, exec_lo
	s_delay_alu instid0(VALU_DEP_1)
	v_cmpx_eq_u32_e32 0, v5
; %bb.1479:                             ;   in Loop: Header=BB2_979 Depth=2
	v_clz_i32_u32_e32 v5, v30
	s_delay_alu instid0(VALU_DEP_1) | instskip(NEXT) | instid1(VALU_DEP_1)
	v_min_u32_e32 v5, 32, v5
	v_subrev_nc_u32_e32 v30, 29, v5
	s_delay_alu instid0(VALU_DEP_1) | instskip(NEXT) | instid1(VALU_DEP_1)
	v_lshlrev_b64_e32 v[118:119], v30, v[2:3]
	v_dual_sub_nc_u32 v5, 30, v5 :: v_dual_bitop2_b32 v30, 3, v118 bitop3:0x40
; %bb.1480:                             ;   in Loop: Header=BB2_979 Depth=2
	s_or_b32 exec_lo, exec_lo, s21
	v_lshlrev_b32_e32 v2, 24, v2
	s_delay_alu instid0(VALU_DEP_1) | instskip(NEXT) | instid1(VALU_DEP_1)
	v_and_b32_e32 v2, 0x80000000, v2
	v_lshl_add_u32 v2, v5, 23, v2
	s_delay_alu instid0(VALU_DEP_1) | instskip(NEXT) | instid1(VALU_DEP_1)
	v_lshl_or_b32 v2, v30, 21, v2
                                        ; implicit-def: $vgpr30
	v_add_nc_u32_e32 v5, 0x38000000, v2
                                        ; implicit-def: $vgpr2
.LBB2_1481:                             ;   in Loop: Header=BB2_979 Depth=2
	s_and_not1_saveexec_b32 s20, s20
; %bb.1482:                             ;   in Loop: Header=BB2_979 Depth=2
	v_bfe_i32 v2, v2, 0, 8
	s_delay_alu instid0(VALU_DEP_1) | instskip(SKIP_2) | instid1(VALU_DEP_2)
	v_cmp_lt_i16_e32 vcc_lo, -1, v2
	v_cndmask_b32_e32 v2, 0xff800000, v21, vcc_lo
	v_cmp_eq_u32_e32 vcc_lo, 0, v30
	v_cndmask_b32_e32 v5, 0x7f800001, v2, vcc_lo
; %bb.1483:                             ;   in Loop: Header=BB2_979 Depth=2
	s_or_b32 exec_lo, exec_lo, s20
.LBB2_1484:                             ;   in Loop: Header=BB2_979 Depth=2
	s_delay_alu instid0(SALU_CYCLE_1)
	s_or_b32 exec_lo, exec_lo, s19
.LBB2_1485:                             ;   in Loop: Header=BB2_979 Depth=2
	s_delay_alu instid0(SALU_CYCLE_1) | instskip(SKIP_2) | instid1(VALU_DEP_1)
	s_or_b32 exec_lo, exec_lo, s7
	v_lshrrev_b32_e32 v2, 16, v64
	s_mov_b32 s7, exec_lo
	v_and_b32_e32 v30, 0xff, v2
	s_delay_alu instid0(VALU_DEP_1)
	v_cmpx_ne_u16_e32 0, v30
	s_cbranch_execz .LBB2_1495
; %bb.1486:                             ;   in Loop: Header=BB2_979 Depth=2
	v_bfrev_b32_e32 v3, 1
	s_mov_b32 s19, exec_lo
	v_cmpx_ne_u16_e32 0x80, v30
	s_cbranch_execz .LBB2_1494
; %bb.1487:                             ;   in Loop: Header=BB2_979 Depth=2
	v_and_b32_e32 v3, 0x7c0000, v64
	v_bfe_u32 v30, v64, 16, 2
	s_delay_alu instid0(VALU_DEP_2) | instskip(SKIP_1) | instid1(SALU_CYCLE_1)
	v_cmp_ne_u32_e32 vcc_lo, 0x7c0000, v3
                                        ; implicit-def: $vgpr3
	s_and_saveexec_b32 s20, vcc_lo
	s_xor_b32 s20, exec_lo, s20
	s_cbranch_execz .LBB2_1491
; %bb.1488:                             ;   in Loop: Header=BB2_979 Depth=2
	v_bfe_u32 v3, v64, 18, 5
	s_mov_b32 s21, exec_lo
	s_delay_alu instid0(VALU_DEP_1)
	v_cmpx_eq_u32_e32 0, v3
; %bb.1489:                             ;   in Loop: Header=BB2_979 Depth=2
	v_clz_i32_u32_e32 v3, v30
	s_delay_alu instid0(VALU_DEP_1) | instskip(NEXT) | instid1(VALU_DEP_1)
	v_min_u32_e32 v3, 32, v3
	v_subrev_nc_u32_e32 v30, 29, v3
	s_delay_alu instid0(VALU_DEP_1) | instskip(NEXT) | instid1(VALU_DEP_1)
	v_lshlrev_b64_e32 v[118:119], v30, v[2:3]
	v_dual_sub_nc_u32 v3, 30, v3 :: v_dual_bitop2_b32 v30, 3, v118 bitop3:0x40
; %bb.1490:                             ;   in Loop: Header=BB2_979 Depth=2
	s_or_b32 exec_lo, exec_lo, s21
	v_lshlrev_b32_e32 v2, 24, v2
	s_delay_alu instid0(VALU_DEP_1) | instskip(NEXT) | instid1(VALU_DEP_1)
	v_and_b32_e32 v2, 0x80000000, v2
	v_lshl_add_u32 v2, v3, 23, v2
	s_delay_alu instid0(VALU_DEP_1) | instskip(NEXT) | instid1(VALU_DEP_1)
	v_lshl_or_b32 v2, v30, 21, v2
                                        ; implicit-def: $vgpr30
	v_add_nc_u32_e32 v3, 0x38000000, v2
                                        ; implicit-def: $vgpr2
.LBB2_1491:                             ;   in Loop: Header=BB2_979 Depth=2
	s_and_not1_saveexec_b32 s20, s20
; %bb.1492:                             ;   in Loop: Header=BB2_979 Depth=2
	v_bfe_i32 v2, v2, 0, 8
	s_delay_alu instid0(VALU_DEP_1) | instskip(SKIP_2) | instid1(VALU_DEP_2)
	v_cmp_lt_i16_e32 vcc_lo, -1, v2
	v_cndmask_b32_e32 v2, 0xff800000, v21, vcc_lo
	v_cmp_eq_u32_e32 vcc_lo, 0, v30
	v_cndmask_b32_e32 v3, 0x7f800001, v2, vcc_lo
; %bb.1493:                             ;   in Loop: Header=BB2_979 Depth=2
	s_or_b32 exec_lo, exec_lo, s20
.LBB2_1494:                             ;   in Loop: Header=BB2_979 Depth=2
	s_delay_alu instid0(SALU_CYCLE_1)
	s_or_b32 exec_lo, exec_lo, s19
.LBB2_1495:                             ;   in Loop: Header=BB2_979 Depth=2
	s_delay_alu instid0(SALU_CYCLE_1) | instskip(NEXT) | instid1(VALU_DEP_1)
	s_or_b32 exec_lo, exec_lo, s7
	v_add_f32_e32 v30, v5, v3
	v_dual_mov_b32 v119, v65 :: v_dual_mov_b32 v3, v65
	s_delay_alu instid0(VALU_DEP_2) | instskip(SKIP_2) | instid1(VALU_DEP_3)
	v_and_b32_e32 v118, 0x7f800000, v30
	v_and_b32_e32 v2, 0x7fffff, v30
	v_lshrrev_b32_e32 v5, 24, v30
	v_cmp_ne_u64_e32 vcc_lo, 0x7f800000, v[118:119]
                                        ; implicit-def: $vgpr118
	s_and_saveexec_b32 s7, vcc_lo
	s_delay_alu instid0(SALU_CYCLE_1)
	s_xor_b32 s19, exec_lo, s7
	s_cbranch_execz .LBB2_1509
; %bb.1496:                             ;   in Loop: Header=BB2_979 Depth=2
	v_and_b32_e32 v118, 0x7fffffff, v30
	v_mov_b32_e32 v119, v65
	v_and_b32_e32 v5, 0x80, v5
	s_delay_alu instid0(VALU_DEP_2) | instskip(SKIP_1) | instid1(SALU_CYCLE_1)
	v_cmp_gt_u64_e32 vcc_lo, 0x47600001, v[118:119]
                                        ; implicit-def: $vgpr118
	s_and_saveexec_b32 s7, vcc_lo
	s_xor_b32 s20, exec_lo, s7
	s_cbranch_execz .LBB2_1506
; %bb.1497:                             ;   in Loop: Header=BB2_979 Depth=2
	v_mov_b32_e32 v118, 0
	s_mov_b32 s21, exec_lo
	v_cmpx_ne_u32_e32 0, v30
	s_cbranch_execz .LBB2_1505
; %bb.1498:                             ;   in Loop: Header=BB2_979 Depth=2
	v_bfe_u32 v30, v30, 23, 8
	v_or_b32_e32 v47, 0x800000, v2
	s_delay_alu instid0(VALU_DEP_2) | instskip(SKIP_1) | instid1(VALU_DEP_2)
	v_sub_nc_u32_e32 v118, 0x71, v30
	v_cmp_gt_u32_e32 vcc_lo, 0x72, v30
	v_cndmask_b32_e32 v118, 0, v118, vcc_lo
	v_cmp_eq_u32_e32 vcc_lo, 0, v30
	s_delay_alu instid0(VALU_DEP_2) | instskip(SKIP_1) | instid1(VALU_DEP_2)
	v_cndmask_b32_e64 v46, v118, 0x70, vcc_lo
	v_cndmask_b32_e32 v2, v47, v2, vcc_lo
	v_dual_add_nc_u32 v118, 21, v46 :: v_dual_add_nc_u32 v62, 20, v46
	s_delay_alu instid0(VALU_DEP_1) | instskip(NEXT) | instid1(VALU_DEP_2)
	v_lshlrev_b64_e64 v[118:119], v118, -1
	v_lshlrev_b64_e64 v[62:63], v62, 1
	s_delay_alu instid0(VALU_DEP_2) | instskip(SKIP_1) | instid1(VALU_DEP_4)
	v_bfi_b32 v118, v118, 0, v2
	v_lshrrev_b64 v[2:3], v46, v[2:3]
	v_bfi_b32 v119, v119, 0, 0
	s_delay_alu instid0(VALU_DEP_1) | instskip(NEXT) | instid1(VALU_DEP_3)
	v_cmp_eq_u64_e64 s7, v[118:119], v[62:63]
	v_mov_b64_e32 v[118:119], v[2:3]
	s_and_saveexec_b32 s22, s7
; %bb.1499:                             ;   in Loop: Header=BB2_979 Depth=2
	v_bfe_u32 v118, v2, 21, 1
	v_mov_b32_e32 v119, v65
	s_delay_alu instid0(VALU_DEP_1) | instskip(NEXT) | instid1(VALU_DEP_1)
	v_add_nc_u64_e32 v[118:119], v[2:3], v[118:119]
	v_add_nc_u64_e32 v[118:119], -1, v[118:119]
; %bb.1500:                             ;   in Loop: Header=BB2_979 Depth=2
	s_or_b32 exec_lo, exec_lo, s22
	v_add_nc_u32_e32 v3, 0xffffff81, v30
	v_lshrrev_b32_e32 v30, 23, v2
	s_mov_b32 s7, exec_lo
	s_delay_alu instid0(VALU_DEP_2) | instskip(NEXT) | instid1(VALU_DEP_1)
	v_cndmask_b32_e64 v3, v3, 0xffffff82, vcc_lo
	v_add3_u32 v119, v46, v3, v30
	v_and_b32_e32 v3, 0x1fffff, v118
                                        ; implicit-def: $vgpr30
	s_delay_alu instid0(VALU_DEP_1) | instskip(SKIP_1) | instid1(VALU_DEP_2)
	v_dual_add_nc_u32 v118, 14, v119 :: v_dual_add_nc_u32 v2, v3, v2
	v_mov_b32_e32 v3, v65
	v_cmpx_ne_u32_e32 0, v118
	s_xor_b32 s7, exec_lo, s7
; %bb.1501:                             ;   in Loop: Header=BB2_979 Depth=2
	s_delay_alu instid0(VALU_DEP_2) | instskip(SKIP_1) | instid1(VALU_DEP_1)
	v_cmp_lt_u64_e32 vcc_lo, 0xffffff, v[2:3]
	v_add_nc_u32_e32 v30, 15, v119
	v_cndmask_b32_e32 v30, v118, v30, vcc_lo
	v_cndmask_b32_e64 v118, 0, 1, vcc_lo
	s_delay_alu instid0(VALU_DEP_1)
	v_lshrrev_b64 v[2:3], v118, v[2:3]
; %bb.1502:                             ;   in Loop: Header=BB2_979 Depth=2
	s_and_not1_saveexec_b32 s7, s7
; %bb.1503:                             ;   in Loop: Header=BB2_979 Depth=2
	s_delay_alu instid0(VALU_DEP_1)
	v_bfe_u32 v30, v2, 23, 1
; %bb.1504:                             ;   in Loop: Header=BB2_979 Depth=2
	s_or_b32 exec_lo, exec_lo, s7
	s_delay_alu instid0(VALU_DEP_2) | instskip(NEXT) | instid1(VALU_DEP_2)
	v_lshrrev_b64 v[2:3], 21, v[2:3]
	v_cmp_gt_i32_e32 vcc_lo, 32, v30
	v_min_i32_e32 v118, 31, v30
	v_cmp_eq_u32_e64 s7, 0, v30
	s_delay_alu instid0(VALU_DEP_2) | instskip(SKIP_1) | instid1(VALU_DEP_2)
	v_dual_cndmask_b32 v3, 0, v3 :: v_dual_lshlrev_b32 v118, 2, v118
	v_cndmask_b32_e32 v2, 3, v2, vcc_lo
	v_and_b32_e32 v118, 0xfc, v118
	s_delay_alu instid0(VALU_DEP_2) | instskip(NEXT) | instid1(VALU_DEP_2)
	v_cmp_eq_u64_e32 vcc_lo, 0, v[2:3]
	v_and_or_b32 v2, v2, 3, v118
	s_and_b32 s7, s7, vcc_lo
	s_delay_alu instid0(VALU_DEP_1) | instid1(SALU_CYCLE_1)
	v_cndmask_b32_e64 v2, v2, 0, s7
	s_delay_alu instid0(VALU_DEP_1)
	v_or_b32_e32 v118, v2, v5
.LBB2_1505:                             ;   in Loop: Header=BB2_979 Depth=2
	s_or_b32 exec_lo, exec_lo, s21
                                        ; implicit-def: $vgpr5
.LBB2_1506:                             ;   in Loop: Header=BB2_979 Depth=2
	s_and_not1_saveexec_b32 s7, s20
; %bb.1507:                             ;   in Loop: Header=BB2_979 Depth=2
	v_or_b32_e32 v118, 0x7b, v5
; %bb.1508:                             ;   in Loop: Header=BB2_979 Depth=2
	s_or_b32 exec_lo, exec_lo, s7
                                        ; implicit-def: $vgpr30
                                        ; implicit-def: $vgpr2_vgpr3
                                        ; implicit-def: $vgpr5
.LBB2_1509:                             ;   in Loop: Header=BB2_979 Depth=2
	s_and_not1_saveexec_b32 s7, s19
	s_cbranch_execz .LBB2_1515
; %bb.1510:                             ;   in Loop: Header=BB2_979 Depth=2
	s_mov_b32 s19, exec_lo
                                        ; implicit-def: $vgpr118
	v_cmpx_ne_u64_e32 0, v[2:3]
	s_xor_b32 s19, exec_lo, s19
; %bb.1511:                             ;   in Loop: Header=BB2_979 Depth=2
	v_or_b32_e32 v118, 0x7f, v5
                                        ; implicit-def: $vgpr30
; %bb.1512:                             ;   in Loop: Header=BB2_979 Depth=2
	s_and_not1_saveexec_b32 s19, s19
; %bb.1513:                             ;   in Loop: Header=BB2_979 Depth=2
	v_cmp_lt_i32_e32 vcc_lo, -1, v30
	v_cndmask_b32_e32 v118, 0xfc, v59, vcc_lo
; %bb.1514:                             ;   in Loop: Header=BB2_979 Depth=2
	s_or_b32 exec_lo, exec_lo, s19
.LBB2_1515:                             ;   in Loop: Header=BB2_979 Depth=2
	s_delay_alu instid0(SALU_CYCLE_1) | instskip(SKIP_3) | instid1(VALU_DEP_2)
	s_or_b32 exec_lo, exec_lo, s7
	v_dual_mov_b32 v2, v65 :: v_dual_mov_b32 v3, v4
	v_dual_mov_b32 v5, 0 :: v_dual_mov_b32 v119, 0
	s_mov_b32 s7, exec_lo
	v_cmpx_lt_u64_e64 s[12:13], v[2:3]
	s_cbranch_execz .LBB2_1525
; %bb.1516:                             ;   in Loop: Header=BB2_979 Depth=2
	v_lshrrev_b32_e32 v30, 24, v4
	v_bfrev_b32_e32 v119, 1
	s_mov_b32 s19, exec_lo
	s_delay_alu instid0(VALU_DEP_2)
	v_cmpx_ne_u32_e32 0x80, v30
	s_cbranch_execz .LBB2_1524
; %bb.1517:                             ;   in Loop: Header=BB2_979 Depth=2
	v_and_b32_e32 v119, 0x7c000000, v4
	v_bfe_u32 v46, v4, 24, 2
	s_delay_alu instid0(VALU_DEP_2) | instskip(SKIP_1) | instid1(SALU_CYCLE_1)
	v_cmp_ne_u32_e32 vcc_lo, 0x7c000000, v119
                                        ; implicit-def: $vgpr119
	s_and_saveexec_b32 s20, vcc_lo
	s_xor_b32 s20, exec_lo, s20
	s_cbranch_execz .LBB2_1521
; %bb.1518:                             ;   in Loop: Header=BB2_979 Depth=2
	v_bfe_u32 v2, v4, 26, 5
	s_mov_b32 s21, exec_lo
	s_delay_alu instid0(VALU_DEP_1)
	v_cmpx_eq_u32_e32 0, v2
; %bb.1519:                             ;   in Loop: Header=BB2_979 Depth=2
	v_clz_i32_u32_e32 v2, v46
	s_delay_alu instid0(VALU_DEP_1) | instskip(NEXT) | instid1(VALU_DEP_1)
	v_min_u32_e32 v2, 32, v2
	v_subrev_nc_u32_e32 v3, 29, v2
	v_sub_nc_u32_e32 v2, 30, v2
	s_delay_alu instid0(VALU_DEP_2) | instskip(NEXT) | instid1(VALU_DEP_1)
	v_lshlrev_b64_e32 v[46:47], v3, v[30:31]
	v_and_b32_e32 v46, 3, v46
; %bb.1520:                             ;   in Loop: Header=BB2_979 Depth=2
	s_or_b32 exec_lo, exec_lo, s21
	v_and_b32_e32 v3, 0x80000000, v4
	s_delay_alu instid0(VALU_DEP_1) | instskip(NEXT) | instid1(VALU_DEP_1)
	v_lshl_add_u32 v2, v2, 23, v3
	v_lshl_or_b32 v2, v46, 21, v2
                                        ; implicit-def: $vgpr46
	s_delay_alu instid0(VALU_DEP_1)
	v_add_nc_u32_e32 v119, 0x38000000, v2
                                        ; implicit-def: $vgpr2_vgpr3
.LBB2_1521:                             ;   in Loop: Header=BB2_979 Depth=2
	s_and_not1_saveexec_b32 s20, s20
; %bb.1522:                             ;   in Loop: Header=BB2_979 Depth=2
	v_cmp_lt_i64_e32 vcc_lo, -1, v[2:3]
	v_cndmask_b32_e32 v2, 0xff800000, v21, vcc_lo
	v_cmp_eq_u32_e32 vcc_lo, 0, v46
	s_delay_alu instid0(VALU_DEP_2)
	v_cndmask_b32_e32 v119, 0x7f800001, v2, vcc_lo
; %bb.1523:                             ;   in Loop: Header=BB2_979 Depth=2
	s_or_b32 exec_lo, exec_lo, s20
.LBB2_1524:                             ;   in Loop: Header=BB2_979 Depth=2
	s_delay_alu instid0(SALU_CYCLE_1)
	s_or_b32 exec_lo, exec_lo, s19
.LBB2_1525:                             ;   in Loop: Header=BB2_979 Depth=2
	s_delay_alu instid0(SALU_CYCLE_1) | instskip(NEXT) | instid1(SALU_CYCLE_1)
	s_or_b32 exec_lo, exec_lo, s7
	s_mov_b32 s7, exec_lo
	v_cmpx_lt_u32_e32 0xffffff, v64
	s_cbranch_execz .LBB2_1535
; %bb.1526:                             ;   in Loop: Header=BB2_979 Depth=2
	v_lshrrev_b32_e32 v2, 24, v64
	v_bfrev_b32_e32 v5, 1
	s_mov_b32 s19, exec_lo
	s_delay_alu instid0(VALU_DEP_2)
	v_cmpx_ne_u32_e32 0x80, v2
	s_cbranch_execz .LBB2_1534
; %bb.1527:                             ;   in Loop: Header=BB2_979 Depth=2
	v_and_b32_e32 v4, 0x7c000000, v64
	v_bfe_u32 v3, v64, 24, 2
	s_mov_b32 s20, exec_lo
                                        ; implicit-def: $vgpr5
	s_delay_alu instid0(VALU_DEP_2)
	v_cmpx_ne_u32_e32 0x7c000000, v4
	s_xor_b32 s20, exec_lo, s20
	s_cbranch_execz .LBB2_1531
; %bb.1528:                             ;   in Loop: Header=BB2_979 Depth=2
	v_bfe_u32 v4, v64, 26, 5
	s_mov_b32 s21, exec_lo
	s_delay_alu instid0(VALU_DEP_1)
	v_cmpx_eq_u32_e32 0, v4
; %bb.1529:                             ;   in Loop: Header=BB2_979 Depth=2
	v_clz_i32_u32_e32 v3, v3
	s_delay_alu instid0(VALU_DEP_1) | instskip(NEXT) | instid1(VALU_DEP_1)
	v_min_u32_e32 v4, 32, v3
	v_subrev_nc_u32_e32 v3, 29, v4
	s_delay_alu instid0(VALU_DEP_1) | instskip(NEXT) | instid1(VALU_DEP_1)
	v_lshlrev_b64_e32 v[2:3], v3, v[2:3]
	v_dual_sub_nc_u32 v4, 30, v4 :: v_dual_bitop2_b32 v3, 3, v2 bitop3:0x40
; %bb.1530:                             ;   in Loop: Header=BB2_979 Depth=2
	s_or_b32 exec_lo, exec_lo, s21
	v_and_b32_e32 v2, 0x80000000, v64
	s_delay_alu instid0(VALU_DEP_1) | instskip(NEXT) | instid1(VALU_DEP_1)
	v_lshl_add_u32 v2, v4, 23, v2
	v_lshl_or_b32 v2, v3, 21, v2
                                        ; implicit-def: $vgpr3
	s_delay_alu instid0(VALU_DEP_1)
	v_add_nc_u32_e32 v5, 0x38000000, v2
.LBB2_1531:                             ;   in Loop: Header=BB2_979 Depth=2
	s_and_not1_saveexec_b32 s20, s20
; %bb.1532:                             ;   in Loop: Header=BB2_979 Depth=2
	v_cmp_lt_i32_e32 vcc_lo, -1, v64
	v_cndmask_b32_e32 v2, 0xff800000, v21, vcc_lo
	v_cmp_eq_u32_e32 vcc_lo, 0, v3
	s_delay_alu instid0(VALU_DEP_2)
	v_cndmask_b32_e32 v5, 0x7f800001, v2, vcc_lo
; %bb.1533:                             ;   in Loop: Header=BB2_979 Depth=2
	s_or_b32 exec_lo, exec_lo, s20
.LBB2_1534:                             ;   in Loop: Header=BB2_979 Depth=2
	s_delay_alu instid0(SALU_CYCLE_1)
	s_or_b32 exec_lo, exec_lo, s19
.LBB2_1535:                             ;   in Loop: Header=BB2_979 Depth=2
	s_delay_alu instid0(SALU_CYCLE_1) | instskip(NEXT) | instid1(VALU_DEP_1)
	s_or_b32 exec_lo, exec_lo, s7
	v_dual_add_f32 v3, v119, v5 :: v_dual_mov_b32 v5, v65
                                        ; implicit-def: $vgpr2
	s_delay_alu instid0(VALU_DEP_1) | instskip(SKIP_1) | instid1(VALU_DEP_2)
	v_and_b32_e32 v4, 0x7f800000, v3
	v_and_b32_e32 v64, 0x7fffff, v3
	v_cmp_ne_u64_e32 vcc_lo, 0x7f800000, v[4:5]
	v_lshrrev_b32_e32 v4, 24, v3
	s_and_saveexec_b32 s7, vcc_lo
	s_delay_alu instid0(SALU_CYCLE_1)
	s_xor_b32 s19, exec_lo, s7
	s_cbranch_execz .LBB2_1549
; %bb.1536:                             ;   in Loop: Header=BB2_979 Depth=2
	v_and_b32_e32 v46, 0x7fffffff, v3
	v_mov_b32_e32 v47, v65
	v_and_b32_e32 v30, 0x80, v4
                                        ; implicit-def: $vgpr2
	s_mov_b32 s7, exec_lo
	s_delay_alu instid0(VALU_DEP_2)
	v_cmpx_gt_u64_e32 0x47600001, v[46:47]
	s_xor_b32 s20, exec_lo, s7
	s_cbranch_execz .LBB2_1546
; %bb.1537:                             ;   in Loop: Header=BB2_979 Depth=2
	v_mov_b32_e32 v2, 0
	s_mov_b32 s21, exec_lo
	v_cmpx_ne_u32_e32 0, v3
	s_cbranch_execz .LBB2_1545
; %bb.1538:                             ;   in Loop: Header=BB2_979 Depth=2
	v_bfe_u32 v119, v3, 23, 8
	v_or_b32_e32 v4, 0x800000, v64
	s_delay_alu instid0(VALU_DEP_2) | instskip(SKIP_1) | instid1(VALU_DEP_2)
	v_sub_nc_u32_e32 v2, 0x71, v119
	v_cmp_gt_u32_e32 vcc_lo, 0x72, v119
	v_cndmask_b32_e32 v2, 0, v2, vcc_lo
	v_cmp_eq_u32_e32 vcc_lo, 0, v119
	v_cndmask_b32_e32 v64, v4, v64, vcc_lo
	s_delay_alu instid0(VALU_DEP_3) | instskip(NEXT) | instid1(VALU_DEP_1)
	v_cndmask_b32_e64 v46, v2, 0x70, vcc_lo
	v_dual_add_nc_u32 v2, 21, v46 :: v_dual_add_nc_u32 v5, 20, v46
	s_delay_alu instid0(VALU_DEP_1) | instskip(NEXT) | instid1(VALU_DEP_2)
	v_lshlrev_b64_e64 v[2:3], v2, -1
	v_lshlrev_b64_e64 v[4:5], v5, 1
	s_delay_alu instid0(VALU_DEP_2) | instskip(NEXT) | instid1(VALU_DEP_3)
	v_bfi_b32 v63, v3, 0, 0
	v_bfi_b32 v62, v2, 0, v64
	v_lshrrev_b64 v[2:3], v46, v[64:65]
	s_delay_alu instid0(VALU_DEP_2) | instskip(NEXT) | instid1(VALU_DEP_2)
	v_cmp_eq_u64_e64 s7, v[62:63], v[4:5]
	v_mov_b64_e32 v[4:5], v[2:3]
	s_and_saveexec_b32 s22, s7
; %bb.1539:                             ;   in Loop: Header=BB2_979 Depth=2
	v_bfe_u32 v64, v2, 21, 1
	s_delay_alu instid0(VALU_DEP_1) | instskip(NEXT) | instid1(VALU_DEP_1)
	v_add_nc_u64_e32 v[4:5], v[2:3], v[64:65]
	v_add_nc_u64_e32 v[4:5], -1, v[4:5]
; %bb.1540:                             ;   in Loop: Header=BB2_979 Depth=2
	s_or_b32 exec_lo, exec_lo, s22
	v_add_nc_u32_e32 v3, 0xffffff81, v119
	v_lshrrev_b32_e32 v5, 23, v2
	s_mov_b32 s7, exec_lo
	s_delay_alu instid0(VALU_DEP_2) | instskip(NEXT) | instid1(VALU_DEP_1)
	v_cndmask_b32_e64 v3, v3, 0xffffff82, vcc_lo
	v_add3_u32 v5, v46, v3, v5
	v_and_b32_e32 v3, 0x1fffff, v4
                                        ; implicit-def: $vgpr4
	s_delay_alu instid0(VALU_DEP_1) | instskip(NEXT) | instid1(VALU_DEP_1)
	v_dual_add_nc_u32 v119, 14, v5 :: v_dual_add_nc_u32 v64, v3, v2
                                        ; implicit-def: $vgpr2_vgpr3
	v_cmpx_ne_u32_e32 0, v119
	s_xor_b32 s7, exec_lo, s7
; %bb.1541:                             ;   in Loop: Header=BB2_979 Depth=2
	s_delay_alu instid0(VALU_DEP_2) | instskip(SKIP_1) | instid1(VALU_DEP_1)
	v_cmp_lt_u64_e32 vcc_lo, 0xffffff, v[64:65]
	v_add_nc_u32_e32 v2, 15, v5
	v_cndmask_b32_e32 v4, v119, v2, vcc_lo
	v_cndmask_b32_e64 v2, 0, 1, vcc_lo
	s_delay_alu instid0(VALU_DEP_1)
	v_lshrrev_b64 v[2:3], v2, v[64:65]
; %bb.1542:                             ;   in Loop: Header=BB2_979 Depth=2
	s_and_not1_saveexec_b32 s7, s7
; %bb.1543:                             ;   in Loop: Header=BB2_979 Depth=2
	v_mov_b64_e32 v[2:3], v[64:65]
	v_bfe_u32 v4, v64, 23, 1
; %bb.1544:                             ;   in Loop: Header=BB2_979 Depth=2
	s_or_b32 exec_lo, exec_lo, s7
	s_delay_alu instid0(VALU_DEP_2) | instskip(NEXT) | instid1(VALU_DEP_2)
	v_lshrrev_b64 v[2:3], 21, v[2:3]
	v_cmp_gt_i32_e32 vcc_lo, 32, v4
	v_min_i32_e32 v5, 31, v4
	v_cmp_eq_u32_e64 s7, 0, v4
	s_delay_alu instid0(VALU_DEP_2) | instskip(SKIP_1) | instid1(VALU_DEP_2)
	v_dual_cndmask_b32 v3, 0, v3, vcc_lo :: v_dual_lshlrev_b32 v5, 2, v5
	v_cndmask_b32_e32 v2, 3, v2, vcc_lo
	v_and_b32_e32 v5, 0xfc, v5
	s_delay_alu instid0(VALU_DEP_2) | instskip(NEXT) | instid1(VALU_DEP_2)
	v_cmp_eq_u64_e32 vcc_lo, 0, v[2:3]
	v_and_or_b32 v2, v2, 3, v5
	s_and_b32 s7, s7, vcc_lo
	s_delay_alu instid0(VALU_DEP_1) | instid1(SALU_CYCLE_1)
	v_cndmask_b32_e64 v2, v2, 0, s7
	s_delay_alu instid0(VALU_DEP_1)
	v_or_b32_e32 v2, v2, v30
.LBB2_1545:                             ;   in Loop: Header=BB2_979 Depth=2
	s_or_b32 exec_lo, exec_lo, s21
                                        ; implicit-def: $vgpr30
.LBB2_1546:                             ;   in Loop: Header=BB2_979 Depth=2
	s_and_not1_saveexec_b32 s7, s20
; %bb.1547:                             ;   in Loop: Header=BB2_979 Depth=2
	v_or_b32_e32 v2, 0x7b, v30
; %bb.1548:                             ;   in Loop: Header=BB2_979 Depth=2
	s_or_b32 exec_lo, exec_lo, s7
                                        ; implicit-def: $vgpr3
                                        ; implicit-def: $vgpr4
.LBB2_1549:                             ;   in Loop: Header=BB2_979 Depth=2
	s_and_not1_saveexec_b32 s7, s19
	s_cbranch_execz .LBB2_1555
; %bb.1550:                             ;   in Loop: Header=BB2_979 Depth=2
	s_mov_b32 s19, exec_lo
                                        ; implicit-def: $vgpr2
	v_cmpx_ne_u64_e32 0, v[64:65]
	s_xor_b32 s19, exec_lo, s19
; %bb.1551:                             ;   in Loop: Header=BB2_979 Depth=2
	v_or_b32_e32 v2, 0x7f, v4
                                        ; implicit-def: $vgpr3
; %bb.1552:                             ;   in Loop: Header=BB2_979 Depth=2
	s_and_not1_saveexec_b32 s19, s19
; %bb.1553:                             ;   in Loop: Header=BB2_979 Depth=2
	v_cmp_lt_i32_e32 vcc_lo, -1, v3
	v_cndmask_b32_e32 v2, 0xfc, v59, vcc_lo
; %bb.1554:                             ;   in Loop: Header=BB2_979 Depth=2
	s_or_b32 exec_lo, exec_lo, s19
.LBB2_1555:                             ;   in Loop: Header=BB2_979 Depth=2
	s_delay_alu instid0(SALU_CYCLE_1) | instskip(SKIP_1) | instid1(VALU_DEP_2)
	s_or_b32 exec_lo, exec_lo, s7
	v_dual_lshlrev_b32 v3, 16, v40 :: v_dual_lshlrev_b32 v4, 16, v118
	v_dual_lshlrev_b32 v5, 24, v41 :: v_dual_lshlrev_b32 v30, 24, v2
	v_cmp_lt_u32_e32 vcc_lo, 7, v61
	s_delay_alu instid0(VALU_DEP_3) | instskip(NEXT) | instid1(VALU_DEP_4)
	v_lshl_or_b32 v2, v44, 8, v3
	v_lshl_or_b32 v3, v45, 8, v4
	s_mov_b32 s7, -1
	s_cmp_lg_u32 vcc_lo, exec_lo
	s_delay_alu instid0(VALU_DEP_2) | instskip(NEXT) | instid1(VALU_DEP_2)
	v_or3_b32 v2, v2, v5, v117
	v_or3_b32 v3, v3, v30, v43
	s_cbranch_scc0 .LBB2_1571
; %bb.1556:                             ;   in Loop: Header=BB2_979 Depth=2
	s_mov_b32 s19, exec_lo
	flat_store_b8 v[18:19], v117
	s_wait_xcnt 0x0
	v_cmpx_ne_u32_e32 1, v61
	s_cbranch_execz .LBB2_1558
; %bb.1557:                             ;   in Loop: Header=BB2_979 Depth=2
	v_lshrrev_b32_e32 v4, 8, v2
	flat_store_b8 v[18:19], v4 offset:1
.LBB2_1558:                             ;   in Loop: Header=BB2_979 Depth=2
	s_wait_xcnt 0x0
	s_or_b32 exec_lo, exec_lo, s19
	s_delay_alu instid0(SALU_CYCLE_1)
	s_mov_b32 s19, exec_lo
	v_cmpx_lt_u32_e32 2, v61
	s_cbranch_execz .LBB2_1560
; %bb.1559:                             ;   in Loop: Header=BB2_979 Depth=2
	flat_store_d16_hi_b8 v[18:19], v2 offset:2
.LBB2_1560:                             ;   in Loop: Header=BB2_979 Depth=2
	s_wait_xcnt 0x0
	s_or_b32 exec_lo, exec_lo, s19
	s_delay_alu instid0(SALU_CYCLE_1)
	s_mov_b32 s19, exec_lo
	v_cmpx_lt_u32_e32 3, v61
	s_cbranch_execz .LBB2_1562
; %bb.1561:                             ;   in Loop: Header=BB2_979 Depth=2
	v_lshrrev_b32_e32 v4, 24, v2
	flat_store_b8 v[18:19], v4 offset:3
.LBB2_1562:                             ;   in Loop: Header=BB2_979 Depth=2
	s_wait_xcnt 0x0
	s_or_b32 exec_lo, exec_lo, s19
	s_delay_alu instid0(SALU_CYCLE_1)
	s_mov_b32 s19, exec_lo
	v_cmpx_lt_u32_e32 4, v61
	s_cbranch_execz .LBB2_1564
; %bb.1563:                             ;   in Loop: Header=BB2_979 Depth=2
	flat_store_b8 v[18:19], v43 offset:4
.LBB2_1564:                             ;   in Loop: Header=BB2_979 Depth=2
	s_wait_xcnt 0x0
	s_or_b32 exec_lo, exec_lo, s19
	s_delay_alu instid0(SALU_CYCLE_1)
	s_mov_b32 s19, exec_lo
	v_cmpx_lt_u32_e32 5, v61
	s_cbranch_execz .LBB2_1566
; %bb.1565:                             ;   in Loop: Header=BB2_979 Depth=2
	v_lshrrev_b32_e32 v4, 8, v3
	flat_store_b8 v[18:19], v4 offset:5
.LBB2_1566:                             ;   in Loop: Header=BB2_979 Depth=2
	s_wait_xcnt 0x0
	s_or_b32 exec_lo, exec_lo, s19
	s_delay_alu instid0(SALU_CYCLE_1)
	s_mov_b32 s19, exec_lo
	v_cmpx_lt_u32_e32 6, v61
	s_cbranch_execz .LBB2_1568
; %bb.1567:                             ;   in Loop: Header=BB2_979 Depth=2
	flat_store_d16_hi_b8 v[18:19], v3 offset:6
.LBB2_1568:                             ;   in Loop: Header=BB2_979 Depth=2
	s_wait_xcnt 0x0
	s_or_b32 exec_lo, exec_lo, s19
	s_and_saveexec_b32 s7, vcc_lo
	s_cbranch_execz .LBB2_1570
; %bb.1569:                             ;   in Loop: Header=BB2_979 Depth=2
	v_lshrrev_b32_e32 v4, 24, v3
	flat_store_b8 v[18:19], v4 offset:7
.LBB2_1570:                             ;   in Loop: Header=BB2_979 Depth=2
	s_wait_xcnt 0x0
	s_or_b32 exec_lo, exec_lo, s7
	s_mov_b32 s7, 0
.LBB2_1571:                             ;   in Loop: Header=BB2_979 Depth=2
	s_delay_alu instid0(SALU_CYCLE_1)
	s_and_b32 vcc_lo, exec_lo, s7
	s_cbranch_vccz .LBB2_978
; %bb.1572:                             ;   in Loop: Header=BB2_979 Depth=2
	global_store_b64 v[18:19], v[2:3], off
	s_branch .LBB2_978
.LBB2_1573:                             ;   in Loop: Header=BB2_46 Depth=1
	s_or_b32 exec_lo, exec_lo, s18
	s_delay_alu instid0(SALU_CYCLE_1)
	s_or_b32 exec_lo, exec_lo, s8
	s_and_saveexec_b32 s7, s3
	s_cbranch_execz .LBB2_976
.LBB2_1574:                             ;   in Loop: Header=BB2_46 Depth=1
	s_and_saveexec_b32 s8, s4
	s_delay_alu instid0(SALU_CYCLE_1)
	s_xor_b32 s8, exec_lo, s8
	s_cbranch_execz .LBB2_1589
; %bb.1575:                             ;   in Loop: Header=BB2_46 Depth=1
	s_and_saveexec_b32 s18, s5
	s_cbranch_execz .LBB2_1588
; %bb.1576:                             ;   in Loop: Header=BB2_46 Depth=1
	s_mov_b32 s20, exec_lo
	s_mov_b32 s19, exec_lo
	v_mbcnt_lo_u32_b32 v2, s20, 0
	global_wb scope:SCOPE_DEV
	s_wait_storecnt_dscnt 0x0
	global_inv scope:SCOPE_DEV
	v_cmpx_eq_u32_e32 0, v2
	s_cbranch_execz .LBB2_1578
; %bb.1577:                             ;   in Loop: Header=BB2_46 Depth=1
	s_bcnt1_i32_b32 s20, s20
	s_delay_alu instid0(SALU_CYCLE_1)
	v_mov_b32_e32 v64, s20
	s_wait_loadcnt 0x0
	ds_add_u64 v0, v[64:65]
	s_trap 2
.LBB2_1578:                             ;   in Loop: Header=BB2_46 Depth=1
	s_or_b32 exec_lo, exec_lo, s19
	s_trap 2
	ds_load_b64 v[2:3], v0
	s_wait_dscnt 0x0
	v_add_nc_u64_e32 v[52:53], v[52:53], v[82:83]
	s_mov_b32 s19, exec_lo
	s_delay_alu instid0(VALU_DEP_1)
	v_cmpx_lt_u64_e64 v[2:3], v[52:53]
	s_cbranch_execz .LBB2_1587
; %bb.1579:                             ;   in Loop: Header=BB2_46 Depth=1
	s_mov_b32 s20, 0
	s_mov_b32 s23, 0
                                        ; implicit-def: $sgpr21
                                        ; implicit-def: $sgpr22
	s_branch .LBB2_1581
.LBB2_1580:                             ;   in Loop: Header=BB2_1581 Depth=2
	s_or_b32 exec_lo, exec_lo, s25
	s_delay_alu instid0(SALU_CYCLE_1) | instskip(NEXT) | instid1(SALU_CYCLE_1)
	s_and_b32 s24, exec_lo, s26
	s_or_b32 s20, s24, s20
	s_and_not1_b32 s21, s21, exec_lo
	s_and_b32 s24, s22, exec_lo
	s_delay_alu instid0(SALU_CYCLE_1)
	s_or_b32 s21, s21, s24
	s_and_not1_b32 exec_lo, exec_lo, s20
	s_cbranch_execz .LBB2_1585
.LBB2_1581:                             ;   Parent Loop BB2_46 Depth=1
                                        ; =>  This Inner Loop Header: Depth=2
	s_add_co_i32 s23, s23, 1
	s_delay_alu instid0(SALU_CYCLE_1) | instskip(SKIP_1) | instid1(SALU_CYCLE_1)
	s_cmp_lg_u32 s23, 0x2710
	s_cselect_b32 s24, -1, 0
	s_and_b32 vcc_lo, exec_lo, s24
	s_cbranch_vccz .LBB2_1583
; %bb.1582:                             ;   in Loop: Header=BB2_1581 Depth=2
	s_mov_b32 s26, -1
	s_or_b32 s22, s22, exec_lo
	s_and_saveexec_b32 s25, s24
	s_cbranch_execz .LBB2_1580
	s_branch .LBB2_1584
.LBB2_1583:                             ;   in Loop: Header=BB2_1581 Depth=2
	s_trap 2
	ds_load_b64 v[2:3], v0
	s_and_not1_b32 s24, s24, exec_lo
	s_mov_b32 s23, 0
	s_wait_loadcnt_dscnt 0x0
	flat_load_b32 v2, v[2:3] scope:SCOPE_SYS
	s_wait_loadcnt_dscnt 0x0
	global_inv scope:SCOPE_SYS
	v_cmp_eq_u32_e32 vcc_lo, 0, v2
	s_and_b32 s25, vcc_lo, exec_lo
	s_delay_alu instid0(SALU_CYCLE_1)
	s_or_b32 s24, s24, s25
	s_mov_b32 s26, -1
	s_or_b32 s22, s22, exec_lo
	s_and_saveexec_b32 s25, s24
	s_cbranch_execz .LBB2_1580
.LBB2_1584:                             ;   in Loop: Header=BB2_1581 Depth=2
	s_sleep 1
	s_trap 2
	ds_load_b64 v[2:3], v0
	s_wait_dscnt 0x0
	s_and_not1_b32 s22, s22, exec_lo
	v_cmp_ge_u64_e32 vcc_lo, v[2:3], v[52:53]
	s_or_not1_b32 s26, vcc_lo, exec_lo
	s_branch .LBB2_1580
.LBB2_1585:                             ;   in Loop: Header=BB2_46 Depth=1
	s_or_b32 exec_lo, exec_lo, s20
	s_and_saveexec_b32 s20, s21
	s_delay_alu instid0(SALU_CYCLE_1)
	s_xor_b32 s20, exec_lo, s20
	s_cbranch_execz .LBB2_1587
; %bb.1586:                             ;   in Loop: Header=BB2_46 Depth=1
	ds_store_b32 v0, v1
	s_trap 2
.LBB2_1587:                             ;   in Loop: Header=BB2_46 Depth=1
	s_or_b32 exec_lo, exec_lo, s19
	;;#ASMSTART
	s_wakeup
	;;#ASMEND
.LBB2_1588:                             ;   in Loop: Header=BB2_46 Depth=1
	s_or_b32 exec_lo, exec_lo, s18
.LBB2_1589:                             ;   in Loop: Header=BB2_46 Depth=1
	s_and_not1_saveexec_b32 s8, s8
	s_cbranch_execz .LBB2_1591
; %bb.1590:                             ;   in Loop: Header=BB2_46 Depth=1
	global_wb scope:SCOPE_DEV
	s_wait_storecnt 0x0
	s_wait_loadcnt_dscnt 0x0
	global_inv scope:SCOPE_DEV
	s_barrier_signal -1
	s_barrier_wait -1
.LBB2_1591:                             ;   in Loop: Header=BB2_46 Depth=1
	s_or_b32 exec_lo, exec_lo, s8
	s_delay_alu instid0(SALU_CYCLE_1)
	s_or_b32 exec_lo, exec_lo, s7
	s_and_saveexec_b32 s7, s6
	s_cbranch_execz .LBB2_45
.LBB2_1592:                             ;   in Loop: Header=BB2_46 Depth=1
	v_add_nc_u64_e32 v[38:39], 1, v[38:39]
	global_wb scope:SCOPE_SYS
	s_wait_storecnt 0x0
	s_wait_loadcnt_dscnt 0x0
	flat_store_b64 v[48:49], v[38:39] scope:SCOPE_SYS
	s_branch .LBB2_45
.LBB2_1593:
	s_or_b32 exec_lo, exec_lo, s16
	s_delay_alu instid0(SALU_CYCLE_1)
	s_or_b32 exec_lo, exec_lo, s14
	s_and_saveexec_b32 s1, s9
	s_cbranch_execz .LBB2_30
.LBB2_1594:
	s_wait_dscnt 0x0
	flat_store_b64 v[28:29], v[38:39] offset:104
	s_wait_xcnt 0x0
	s_or_b32 exec_lo, exec_lo, s1
	s_and_saveexec_b32 s1, s0
	s_cbranch_execnz .LBB2_31
	s_branch .LBB2_32
.LBB2_1595:
	s_or_b32 exec_lo, exec_lo, s4
	s_and_saveexec_b32 s4, s5
	s_delay_alu instid0(SALU_CYCLE_1)
	s_xor_b32 s4, exec_lo, s4
	s_cbranch_execz .LBB2_1597
; %bb.1596:
	v_mov_b32_e32 v0, 1
	ds_store_b32 v0, v0
	s_trap 2
.LBB2_1597:
	s_or_b32 exec_lo, exec_lo, s3
	;;#ASMSTART
	s_wakeup
	;;#ASMEND
.LBB2_1598:
	s_or_b32 exec_lo, exec_lo, s2
.LBB2_1599:
	s_and_not1_saveexec_b32 s1, s1
	s_cbranch_execz .LBB2_1601
; %bb.1600:
	global_wb scope:SCOPE_DEV
	s_wait_storecnt 0x0
	s_wait_loadcnt_dscnt 0x0
	global_inv scope:SCOPE_DEV
	s_barrier_signal -1
	s_barrier_wait -1
.LBB2_1601:
	s_or_b32 exec_lo, exec_lo, s0
	s_clause 0x1b
	scratch_load_b32 v91, off, s32
	scratch_load_b32 v90, off, s32 offset:4
	scratch_load_b32 v89, off, s32 offset:8
	;; [unrolled: 1-line block ×27, first 2 shown]
	s_wait_loadcnt_dscnt 0x0
	s_set_pc_i64 s[30:31]
.Lfunc_end2:
	.size	_ZN12_GLOBAL__N_17runRingI14__hip_fp8_e5m213FuncPreMulSumIS1_E7ProtoLLLi0ELi2ELi0EEEviiP15ncclDevWorkColl, .Lfunc_end2-_ZN12_GLOBAL__N_17runRingI14__hip_fp8_e5m213FuncPreMulSumIS1_E7ProtoLLLi0ELi2ELi0EEEviiP15ncclDevWorkColl
                                        ; -- End function
	.set .L_ZN12_GLOBAL__N_17runRingI14__hip_fp8_e5m213FuncPreMulSumIS1_E7ProtoLLLi0ELi2ELi0EEEviiP15ncclDevWorkColl.num_vgpr, 120
	.set .L_ZN12_GLOBAL__N_17runRingI14__hip_fp8_e5m213FuncPreMulSumIS1_E7ProtoLLLi0ELi2ELi0EEEviiP15ncclDevWorkColl.num_agpr, 0
	.set .L_ZN12_GLOBAL__N_17runRingI14__hip_fp8_e5m213FuncPreMulSumIS1_E7ProtoLLLi0ELi2ELi0EEEviiP15ncclDevWorkColl.numbered_sgpr, 41
	.set .L_ZN12_GLOBAL__N_17runRingI14__hip_fp8_e5m213FuncPreMulSumIS1_E7ProtoLLLi0ELi2ELi0EEEviiP15ncclDevWorkColl.num_named_barrier, 0
	.set .L_ZN12_GLOBAL__N_17runRingI14__hip_fp8_e5m213FuncPreMulSumIS1_E7ProtoLLLi0ELi2ELi0EEEviiP15ncclDevWorkColl.private_seg_size, 116
	.set .L_ZN12_GLOBAL__N_17runRingI14__hip_fp8_e5m213FuncPreMulSumIS1_E7ProtoLLLi0ELi2ELi0EEEviiP15ncclDevWorkColl.uses_vcc, 1
	.set .L_ZN12_GLOBAL__N_17runRingI14__hip_fp8_e5m213FuncPreMulSumIS1_E7ProtoLLLi0ELi2ELi0EEEviiP15ncclDevWorkColl.uses_flat_scratch, 1
	.set .L_ZN12_GLOBAL__N_17runRingI14__hip_fp8_e5m213FuncPreMulSumIS1_E7ProtoLLLi0ELi2ELi0EEEviiP15ncclDevWorkColl.has_dyn_sized_stack, 0
	.set .L_ZN12_GLOBAL__N_17runRingI14__hip_fp8_e5m213FuncPreMulSumIS1_E7ProtoLLLi0ELi2ELi0EEEviiP15ncclDevWorkColl.has_recursion, 0
	.set .L_ZN12_GLOBAL__N_17runRingI14__hip_fp8_e5m213FuncPreMulSumIS1_E7ProtoLLLi0ELi2ELi0EEEviiP15ncclDevWorkColl.has_indirect_call, 0
	.section	.AMDGPU.csdata,"",@progbits
; Function info:
; codeLenInByte = 46740
; TotalNumSgprs: 43
; NumVgprs: 120
; ScratchSize: 116
; MemoryBound: 0
	.text
	.p2align	2                               ; -- Begin function _Z56ncclDevFunc_ReduceScatter_RING_LL_PreMulSum_f8e5m2_0_0_2v
	.type	_Z56ncclDevFunc_ReduceScatter_RING_LL_PreMulSum_f8e5m2_0_0_2v,@function
_Z56ncclDevFunc_ReduceScatter_RING_LL_PreMulSum_f8e5m2_0_0_2v: ; @_Z56ncclDevFunc_ReduceScatter_RING_LL_PreMulSum_f8e5m2_0_0_2v
; %bb.0:
	s_wait_loadcnt_dscnt 0x0
	s_wait_kmcnt 0x0
	s_mov_b32 s56, s33
	s_mov_b32 s33, s32
	s_or_saveexec_b32 s0, -1
	scratch_store_b32 off, v41, s33 offset:4 ; 4-byte Folded Spill
	s_wait_xcnt 0x0
	s_mov_b32 exec_lo, s0
	s_add_co_i32 s32, s32, 16
	scratch_store_b32 off, v40, s33         ; 4-byte Folded Spill
	v_writelane_b32 v41, s30, 0
	v_writelane_b32 v41, s31, 1
	s_trap 2
	ds_load_b32 v0, v0
	s_wait_xcnt 0x0
	v_and_b32_e32 v40, 0x3ff, v31
	s_mov_b32 s41, s12
	s_mov_b64 s[42:43], s[8:9]
	s_mov_b32 s2, exec_lo
	s_wait_dscnt 0x0
	v_cmpx_lt_i32_e64 v40, v0
	s_cbranch_execz .LBB3_5
; %bb.1:
	s_load_b32 s0, s[42:43], 0x0
	s_bfe_u32 s1, ttmp6, 0x4000c
	s_and_b32 s3, ttmp6, 15
	s_add_co_i32 s1, s1, 1
	s_getreg_b32 s4, hwreg(HW_REG_IB_STS2, 6, 4)
	s_mul_i32 s1, ttmp9, s1
	v_mov_b32_e32 v2, v40
	s_add_co_i32 s3, s3, s1
	s_cmp_eq_u32 s4, 0
                                        ; implicit-def: $vgpr3
	s_cselect_b32 s1, ttmp9, s3
	s_mov_b32 s3, 0
	s_wait_kmcnt 0x0
	s_cmp_lt_u32 s1, s0
	s_mov_b32 s1, 0
	s_cselect_b32 s0, 12, 18
	s_delay_alu instid0(SALU_CYCLE_1)
	s_add_nc_u64 s[4:5], s[42:43], s[0:1]
	s_load_u16 s0, s[4:5], 0x0
	s_trap 2
	ds_load_b32 v1, v0
	s_wait_dscnt 0x0
	s_wait_kmcnt 0x0
	v_mul_lo_u32 v1, v1, s0
	s_branch .LBB3_3
.LBB3_2:                                ;   in Loop: Header=BB3_3 Depth=1
	s_or_b32 exec_lo, exec_lo, s4
	v_dual_add_nc_u32 v2, s0, v2 :: v_dual_add_nc_u32 v3, v3, v1
	s_delay_alu instid0(VALU_DEP_1) | instskip(SKIP_1) | instid1(SALU_CYCLE_1)
	v_cmp_ge_i32_e32 vcc_lo, v2, v0
	s_or_b32 s3, vcc_lo, s3
	s_and_not1_b32 exec_lo, exec_lo, s3
	s_cbranch_execz .LBB3_5
.LBB3_3:                                ; =>This Inner Loop Header: Depth=1
	ds_load_b32 v4, v3
	s_mov_b32 s4, exec_lo
	s_wait_dscnt 0x0
	v_and_b32_e32 v4, 0x1000000, v4
	s_delay_alu instid0(VALU_DEP_1)
	v_cmpx_ne_u32_e32 0, v4
	s_cbranch_execz .LBB3_2
; %bb.4:                                ;   in Loop: Header=BB3_3 Depth=1
	ds_load_b64 v[4:5], v3 offset:104
	s_wait_dscnt 0x0
	flat_load_u8 v4, v[4:5]
	s_wait_xcnt 0x0
	v_mov_b32_e32 v5, s1
	s_wait_loadcnt_dscnt 0x0
	v_and_b32_e32 v4, 0xffff, v4
	ds_store_b64 v3, v[4:5] offset:104
	s_branch .LBB3_2
.LBB3_5:
	s_or_b32 exec_lo, exec_lo, s2
	s_wait_storecnt_dscnt 0x0
	s_barrier_signal -1
	s_barrier_wait -1
	s_trap 2
	ds_load_b32 v0, v0
	s_wait_dscnt 0x0
	v_cmp_gt_i32_e32 vcc_lo, 1, v0
	s_cbranch_vccnz .LBB3_13
; %bb.6:
	s_mov_b32 s46, 0
	s_get_pc_i64 s[44:45]
	s_add_nc_u64 s[44:45], s[44:45], _ZN12_GLOBAL__N_17runRingI14__hip_fp8_e5m213FuncPreMulSumIS1_E7ProtoLLLi0ELi2ELi0EEEviiP15ncclDevWorkColl@rel64+4
	s_branch .LBB3_8
.LBB3_7:                                ;   in Loop: Header=BB3_8 Depth=1
	s_or_b32 exec_lo, exec_lo, s47
	s_trap 2
	ds_load_b32 v0, v0
	s_add_co_i32 s46, s46, 1
	s_wait_dscnt 0x0
	v_cmp_lt_i32_e32 vcc_lo, s46, v0
	s_cbranch_vccz .LBB3_13
.LBB3_8:                                ; =>This Inner Loop Header: Depth=1
	s_trap 2
	ds_load_b32 v0, v0
	s_cmp_eq_u32 s46, 0
	s_cbranch_scc1 .LBB3_11
; %bb.9:                                ;   in Loop: Header=BB3_8 Depth=1
	s_trap 2
	s_wait_dscnt 0x0
	ds_load_b32 v1, v0
	s_wait_dscnt 0x0
	v_xor_b32_e32 v1, v1, v0
	s_delay_alu instid0(VALU_DEP_1) | instskip(NEXT) | instid1(VALU_DEP_1)
	v_and_b32_e32 v1, 0xff0000, v1
	v_cmp_eq_u32_e32 vcc_lo, 0, v1
	s_cbranch_vccnz .LBB3_11
; %bb.10:                               ;   in Loop: Header=BB3_8 Depth=1
	s_barrier_signal -1
	s_barrier_wait -1
	ds_load_b32 v0, v0
.LBB3_11:                               ;   in Loop: Header=BB3_8 Depth=1
	s_wait_dscnt 0x0
	v_lshrrev_b32_e32 v0, 11, v0
	s_mov_b32 s47, exec_lo
	s_delay_alu instid0(VALU_DEP_1) | instskip(NEXT) | instid1(VALU_DEP_1)
	v_and_b32_e32 v1, 0x1fe0, v0
	v_cmpx_lt_u32_e64 v40, v1
	s_cbranch_execz .LBB3_7
; %bb.12:                               ;   in Loop: Header=BB3_8 Depth=1
	s_mov_b64 s[0:1], src_shared_base
	s_delay_alu instid0(SALU_CYCLE_1)
	v_dual_mov_b32 v0, v40 :: v_dual_mov_b32 v3, s1
	s_mov_b64 s[8:9], s[42:43]
	s_mov_b32 s12, s41
	s_swap_pc_i64 s[30:31], s[44:45]
	s_branch .LBB3_7
.LBB3_13:
	scratch_load_b32 v40, off, s33          ; 4-byte Folded Reload
	v_readlane_b32 s30, v41, 0
	v_readlane_b32 s31, v41, 1
	s_mov_b32 s32, s33
	s_wait_xcnt 0x0
	s_or_saveexec_b32 s0, -1
	scratch_load_b32 v41, off, s33 offset:4 ; 4-byte Folded Reload
	s_wait_xcnt 0x0
	s_mov_b32 exec_lo, s0
	s_mov_b32 s33, s56
	s_wait_loadcnt 0x0
	s_set_pc_i64 s[30:31]
.Lfunc_end3:
	.size	_Z56ncclDevFunc_ReduceScatter_RING_LL_PreMulSum_f8e5m2_0_0_2v, .Lfunc_end3-_Z56ncclDevFunc_ReduceScatter_RING_LL_PreMulSum_f8e5m2_0_0_2v
                                        ; -- End function
	.set .L_Z56ncclDevFunc_ReduceScatter_RING_LL_PreMulSum_f8e5m2_0_0_2v.num_vgpr, max(42, .L_ZN12_GLOBAL__N_17runRingI14__hip_fp8_e5m213FuncPreMulSumIS1_E7ProtoLLLi0ELi2ELi0EEEviiP15ncclDevWorkColl.num_vgpr)
	.set .L_Z56ncclDevFunc_ReduceScatter_RING_LL_PreMulSum_f8e5m2_0_0_2v.num_agpr, max(0, .L_ZN12_GLOBAL__N_17runRingI14__hip_fp8_e5m213FuncPreMulSumIS1_E7ProtoLLLi0ELi2ELi0EEEviiP15ncclDevWorkColl.num_agpr)
	.set .L_Z56ncclDevFunc_ReduceScatter_RING_LL_PreMulSum_f8e5m2_0_0_2v.numbered_sgpr, max(57, .L_ZN12_GLOBAL__N_17runRingI14__hip_fp8_e5m213FuncPreMulSumIS1_E7ProtoLLLi0ELi2ELi0EEEviiP15ncclDevWorkColl.numbered_sgpr)
	.set .L_Z56ncclDevFunc_ReduceScatter_RING_LL_PreMulSum_f8e5m2_0_0_2v.num_named_barrier, max(0, .L_ZN12_GLOBAL__N_17runRingI14__hip_fp8_e5m213FuncPreMulSumIS1_E7ProtoLLLi0ELi2ELi0EEEviiP15ncclDevWorkColl.num_named_barrier)
	.set .L_Z56ncclDevFunc_ReduceScatter_RING_LL_PreMulSum_f8e5m2_0_0_2v.private_seg_size, 16+max(.L_ZN12_GLOBAL__N_17runRingI14__hip_fp8_e5m213FuncPreMulSumIS1_E7ProtoLLLi0ELi2ELi0EEEviiP15ncclDevWorkColl.private_seg_size)
	.set .L_Z56ncclDevFunc_ReduceScatter_RING_LL_PreMulSum_f8e5m2_0_0_2v.uses_vcc, or(1, .L_ZN12_GLOBAL__N_17runRingI14__hip_fp8_e5m213FuncPreMulSumIS1_E7ProtoLLLi0ELi2ELi0EEEviiP15ncclDevWorkColl.uses_vcc)
	.set .L_Z56ncclDevFunc_ReduceScatter_RING_LL_PreMulSum_f8e5m2_0_0_2v.uses_flat_scratch, or(0, .L_ZN12_GLOBAL__N_17runRingI14__hip_fp8_e5m213FuncPreMulSumIS1_E7ProtoLLLi0ELi2ELi0EEEviiP15ncclDevWorkColl.uses_flat_scratch)
	.set .L_Z56ncclDevFunc_ReduceScatter_RING_LL_PreMulSum_f8e5m2_0_0_2v.has_dyn_sized_stack, or(0, .L_ZN12_GLOBAL__N_17runRingI14__hip_fp8_e5m213FuncPreMulSumIS1_E7ProtoLLLi0ELi2ELi0EEEviiP15ncclDevWorkColl.has_dyn_sized_stack)
	.set .L_Z56ncclDevFunc_ReduceScatter_RING_LL_PreMulSum_f8e5m2_0_0_2v.has_recursion, or(1, .L_ZN12_GLOBAL__N_17runRingI14__hip_fp8_e5m213FuncPreMulSumIS1_E7ProtoLLLi0ELi2ELi0EEEviiP15ncclDevWorkColl.has_recursion)
	.set .L_Z56ncclDevFunc_ReduceScatter_RING_LL_PreMulSum_f8e5m2_0_0_2v.has_indirect_call, or(0, .L_ZN12_GLOBAL__N_17runRingI14__hip_fp8_e5m213FuncPreMulSumIS1_E7ProtoLLLi0ELi2ELi0EEEviiP15ncclDevWorkColl.has_indirect_call)
	.section	.AMDGPU.csdata,"",@progbits
; Function info:
; codeLenInByte = 684
; TotalNumSgprs: 59
; NumVgprs: 120
; ScratchSize: 132
; MemoryBound: 0
	.text
	.p2align	2                               ; -- Begin function _ZN12_GLOBAL__N_17runRingI14__hip_fp8_e5m213FuncPreMulSumIS1_E7ProtoLLLi0ELi4ELi0EEEviiP15ncclDevWorkColl
	.type	_ZN12_GLOBAL__N_17runRingI14__hip_fp8_e5m213FuncPreMulSumIS1_E7ProtoLLLi0ELi4ELi0EEEviiP15ncclDevWorkColl,@function
_ZN12_GLOBAL__N_17runRingI14__hip_fp8_e5m213FuncPreMulSumIS1_E7ProtoLLLi0ELi4ELi0EEEviiP15ncclDevWorkColl: ; @_ZN12_GLOBAL__N_17runRingI14__hip_fp8_e5m213FuncPreMulSumIS1_E7ProtoLLLi0ELi4ELi0EEEviiP15ncclDevWorkColl
; %bb.0:
	s_wait_loadcnt_dscnt 0x0
	s_wait_kmcnt 0x0
	s_clause 0x1b
	scratch_store_b32 off, v40, s32 offset:108
	; meta instruction
	scratch_store_b32 off, v41, s32 offset:104
	; meta instruction
	;; [unrolled: 2-line block ×27, first 2 shown]
	scratch_store_b32 off, v91, s32
	s_trap 2
	s_clause 0x2
	flat_load_b32 v12, v[2:3]
	flat_load_b128 v[4:7], v[2:3] offset:72
	flat_load_b64 v[66:67], v[2:3] offset:88
	v_mov_b32_e32 v20, v1
	ds_load_b32 v8, v0
	ds_load_b64 v[22:23], v0
	s_mov_b32 s0, exec_lo
                                        ; implicit-def: $vgpr64_vgpr65
                                        ; implicit-def: $vgpr24_vgpr25
	s_wait_dscnt 0x1
	v_readfirstlane_b32 s10, v8
	s_wait_loadcnt 0x2
	v_bfe_u32 v9, v12, 8, 8
	v_bitop3_b32 v1, v12, 0xff, v12 bitop3:0x3f
	s_delay_alu instid0(VALU_DEP_1) | instskip(NEXT) | instid1(VALU_DEP_1)
	v_add_nc_u32_e32 v10, v9, v1
	v_ashrrev_i32_e32 v11, 31, v10
	s_wait_loadcnt 0x1
	s_delay_alu instid0(VALU_DEP_1) | instskip(SKIP_2) | instid1(VALU_DEP_1)
	v_mul_u64_e32 v[18:19], v[6:7], v[10:11]
	v_and_b32_e32 v10, 0xff, v12
	s_wait_xcnt 0x0
	v_cmpx_ne_u32_e64 v8, v10
	s_xor_b32 s0, exec_lo, s0
	s_cbranch_execz .LBB4_6
; %bb.1:
	s_mov_b32 s1, exec_lo
                                        ; implicit-def: $vgpr64_vgpr65
                                        ; implicit-def: $vgpr24_vgpr25
	v_cmpx_ne_u32_e64 v8, v9
	s_xor_b32 s1, exec_lo, s1
	s_cbranch_execz .LBB4_3
; %bb.2:
	flat_load_b64 v[10:11], v[2:3] offset:96
	v_add_nc_u32_e32 v1, v8, v1
	s_delay_alu instid0(VALU_DEP_1) | instskip(NEXT) | instid1(VALU_DEP_1)
	v_mad_nc_u64_u32 v[24:25], v6, v1, v[4:5]
	v_mad_u32 v8, v7, v1, v25
	v_ashrrev_i32_e32 v1, 31, v1
	s_delay_alu instid0(VALU_DEP_1)
	v_mad_u32 v25, v6, v1, v8
	s_wait_loadcnt_dscnt 0x0
	v_lshrrev_b64 v[64:65], 17, v[10:11]
.LBB4_3:
	s_wait_xcnt 0x0
	s_and_not1_saveexec_b32 s1, s1
	s_cbranch_execz .LBB4_5
; %bb.4:
	flat_load_b32 v1, v[2:3] offset:100
	v_add_nc_u64_e32 v[24:25], v[18:19], v[4:5]
	s_wait_loadcnt 0x1
	v_mov_b64_e32 v[6:7], v[66:67]
	s_wait_loadcnt_dscnt 0x0
	v_lshrrev_b32_e32 v64, 6, v1
.LBB4_5:
	s_wait_xcnt 0x0
	s_or_b32 exec_lo, exec_lo, s1
.LBB4_6:
	s_and_not1_saveexec_b32 s0, s0
	s_cbranch_execz .LBB4_8
; %bb.7:
	flat_load_b64 v[6:7], v[2:3] offset:96
	v_mov_b64_e32 v[24:25], 0
	s_wait_loadcnt_dscnt 0x0
	v_lshlrev_b64_e32 v[64:65], 4, v[6:7]
	v_mov_b64_e32 v[6:7], v[4:5]
.LBB4_8:
	s_wait_xcnt 0x0
	s_or_b32 exec_lo, exec_lo, s0
	s_clause 0x3
	flat_load_b64 v[14:15], v[2:3] offset:104
	flat_load_b128 v[8:11], v[2:3] offset:16
	flat_load_u16 v13, v[2:3] offset:8
	flat_load_b32 v12, v[2:3] offset:4
	v_dual_mov_b32 v1, 0 :: v_dual_mov_b32 v56, 0
	s_mov_b32 s1, 0
	s_mov_b32 s0, exec_lo
	s_wait_loadcnt_dscnt 0x303
	s_wait_xcnt 0x0
	v_and_b32_e32 v2, 0xff, v14
	s_delay_alu instid0(VALU_DEP_1)
	v_cmpx_ne_u16_e32 0, v2
	s_cbranch_execz .LBB4_18
; %bb.9:
	v_bfe_i32 v2, v14, 0, 8
	v_bfrev_b32_e32 v56, 1
	s_mov_b32 s2, exec_lo
	s_delay_alu instid0(VALU_DEP_2)
	v_cmpx_ne_u16_e32 0xff80, v2
	s_cbranch_execz .LBB4_17
; %bb.10:
	v_and_b32_e32 v16, 0x7c, v14
	v_and_b32_e32 v3, 3, v14
	s_mov_b32 s3, exec_lo
                                        ; implicit-def: $vgpr56
	s_delay_alu instid0(VALU_DEP_2)
	v_cmpx_ne_u32_e32 0x7c, v16
	s_xor_b32 s3, exec_lo, s3
	s_cbranch_execz .LBB4_14
; %bb.11:
	v_bfe_u32 v16, v14, 2, 5
	s_mov_b32 s4, exec_lo
	s_delay_alu instid0(VALU_DEP_1)
	v_cmpx_eq_u32_e32 0, v16
; %bb.12:
	v_clz_i32_u32_e32 v3, v3
	s_delay_alu instid0(VALU_DEP_1) | instskip(NEXT) | instid1(VALU_DEP_1)
	v_min_u32_e32 v3, 32, v3
	v_subrev_nc_u32_e32 v16, 29, v3
	s_delay_alu instid0(VALU_DEP_1) | instskip(NEXT) | instid1(VALU_DEP_1)
	v_lshlrev_b64_e32 v[14:15], v16, v[14:15]
	v_dual_sub_nc_u32 v16, 30, v3 :: v_dual_bitop2_b32 v3, 3, v14 bitop3:0x40
; %bb.13:
	s_or_b32 exec_lo, exec_lo, s4
	v_bfe_i32 v2, v2, 0, 16
	s_delay_alu instid0(VALU_DEP_1) | instskip(NEXT) | instid1(VALU_DEP_1)
	v_and_b32_e32 v2, 0x80000000, v2
	v_lshl_add_u32 v2, v16, 23, v2
	s_delay_alu instid0(VALU_DEP_1) | instskip(NEXT) | instid1(VALU_DEP_1)
	v_lshl_or_b32 v2, v3, 21, v2
                                        ; implicit-def: $vgpr3
	v_add_nc_u32_e32 v56, 0x38000000, v2
                                        ; implicit-def: $vgpr2
.LBB4_14:
	s_and_not1_saveexec_b32 s3, s3
; %bb.15:
	v_mov_b32_e32 v14, 0x7f800000
	v_cmp_lt_i16_e32 vcc_lo, -1, v2
	s_delay_alu instid0(VALU_DEP_2) | instskip(SKIP_1) | instid1(VALU_DEP_2)
	v_cndmask_b32_e32 v2, 0xff800000, v14, vcc_lo
	v_cmp_eq_u32_e32 vcc_lo, 0, v3
	v_cndmask_b32_e32 v56, 0x7f800001, v2, vcc_lo
; %bb.16:
	s_or_b32 exec_lo, exec_lo, s3
.LBB4_17:
	s_delay_alu instid0(SALU_CYCLE_1)
	s_or_b32 exec_lo, exec_lo, s2
.LBB4_18:
	s_delay_alu instid0(SALU_CYCLE_1)
	s_or_b32 exec_lo, exec_lo, s0
	s_load_b32 s0, s[8:9], 0x0
	s_bfe_u32 s2, ttmp6, 0x4000c
	s_and_b32 s3, ttmp6, 15
	s_add_co_i32 s2, s2, 1
	s_getreg_b32 s4, hwreg(HW_REG_IB_STS2, 6, 4)
	s_mul_i32 s2, ttmp9, s2
	s_wait_loadcnt_dscnt 0x0
	v_lshrrev_b64 v[14:15], 31, v[12:13]
	s_add_co_i32 s3, s3, s2
	s_cmp_eq_u32 s4, 0
	v_and_b32_e32 v12, 31, v0
	s_cselect_b32 s2, ttmp9, s3
	v_mov_b64_e32 v[26:27], 0
	s_delay_alu instid0(VALU_DEP_3) | instskip(NEXT) | instid1(VALU_DEP_1)
	v_and_b32_e32 v3, 3, v14
	v_and_b32_e32 v13, 0xffff, v3
	s_wait_kmcnt 0x0
	s_cmp_lt_u32 s2, s0
	s_cselect_b32 s0, 12, 18
	s_delay_alu instid0(SALU_CYCLE_1)
	s_add_nc_u64 s[2:3], s[8:9], s[0:1]
	v_cmp_eq_u32_e64 s0, 0, v12
	global_load_u16 v1, v1, s[2:3]
	s_trap 2
	ds_load_b32 v2, v0
	s_wait_dscnt 0x0
	v_cmp_gt_i32_e32 vcc_lo, 0, v2
	s_wait_xcnt 0x0
	v_readfirstlane_b32 s2, v2
	s_cbranch_vccnz .LBB4_20
; %bb.19:
	s_trap 2
	ds_load_b64 v[14:15], v0
	s_mov_b32 s1, 1
	s_wait_dscnt 0x0
	v_readfirstlane_b32 s4, v14
	v_readfirstlane_b32 s5, v15
	flat_load_b64 v[2:3], v2, s[4:5] scale_offset
	s_wait_loadcnt_dscnt 0x0
	v_mad_nc_u64_u32 v[2:3], 0xa8, v13, v[2:3]
	s_clause 0x1
	flat_load_b64 v[32:33], v[2:3] offset:504
	flat_load_b64 v[34:35], v[2:3] offset:608
	v_add_nc_u64_e32 v[28:29], 0x1f8, v[2:3]
	s_wait_xcnt 0x0
	s_delay_alu instid0(VALU_DEP_1)
	v_dual_cndmask_b32 v3, 0, v29, s0 :: v_dual_cndmask_b32 v2, 0, v28, s0
	s_branch .LBB4_21
.LBB4_20:
	v_mov_b64_e32 v[28:29], 0
	v_mov_b64_e32 v[2:3], 0
                                        ; implicit-def: $vgpr34_vgpr35
                                        ; implicit-def: $vgpr32_vgpr33
.LBB4_21:
	s_trap 2
	ds_load_b32 v14, v0
	s_wait_dscnt 0x0
	v_cmp_gt_i32_e32 vcc_lo, 0, v14
	s_cbranch_vccnz .LBB4_23
; %bb.22:
	s_trap 2
	ds_load_b64 v[16:17], v0
	v_cmp_eq_u32_e32 vcc_lo, 0, v12
	s_wait_dscnt 0x0
	v_readfirstlane_b32 s4, v16
	v_readfirstlane_b32 s5, v17
	flat_load_b64 v[14:15], v14, s[4:5] scale_offset
	s_wait_loadcnt_dscnt 0x0
	v_mad_nc_u64_u32 v[26:27], 0xa8, v13, v[14:15]
	s_clause 0x1
	flat_load_b64 v[36:37], v[26:27]
	flat_load_b64 v[16:17], v[26:27] offset:104
	v_dual_cndmask_b32 v53, 0, v27 :: v_dual_cndmask_b32 v52, 0, v26
	s_branch .LBB4_24
.LBB4_23:
	v_mov_b64_e32 v[52:53], 0
                                        ; implicit-def: $vgpr16_vgpr17
                                        ; implicit-def: $vgpr36_vgpr37
.LBB4_24:
	s_wait_xcnt 0x2
	v_subrev_nc_u32_e32 v14, 32, v20
	v_cmp_gt_u32_e32 vcc_lo, s1, v12
	v_mov_b64_e32 v[12:13], 0
	v_mov_b64_e32 v[48:49], 0
                                        ; implicit-def: $vgpr38_vgpr39
	s_delay_alu instid0(VALU_DEP_4)
	v_cmp_ge_i32_e64 s0, v0, v14
	s_and_b32 s9, s0, vcc_lo
	s_wait_xcnt 0x0
	s_and_saveexec_b32 s0, s9
	s_cbranch_execz .LBB4_26
; %bb.25:
	s_clause 0x1
	flat_load_b64 v[48:49], v[2:3] offset:56
	flat_load_b64 v[38:39], v[2:3] offset:104
.LBB4_26:
	s_wait_xcnt 0x0
	s_or_b32 exec_lo, exec_lo, s0
	v_mov_b64_e32 v[50:51], 0
	v_cmp_gt_u32_e64 s0, s1, v0
                                        ; implicit-def: $vgpr54_vgpr55
	s_and_saveexec_b32 s1, s0
	s_cbranch_execz .LBB4_28
; %bb.27:
	flat_load_b64 v[50:51], v[52:53] offset:56
	s_wait_loadcnt_dscnt 0x0
	flat_load_b64 v[54:55], v[50:51] scope:SCOPE_SYS
	s_wait_loadcnt 0x0
	flat_load_b128 v[12:15], v[52:53] offset:96
.LBB4_28:
	s_wait_xcnt 0x0
	s_or_b32 exec_lo, exec_lo, s1
	v_mov_b64_e32 v[52:53], 0
	s_wait_loadcnt 0x0
	v_and_b32_e32 v57, 0xffff, v1
	s_mov_b32 s14, exec_lo
	v_cmpx_ne_u64_e32 0, v[6:7]
	s_cbranch_execnz .LBB4_44
; %bb.29:
	s_or_b32 exec_lo, exec_lo, s14
	s_and_saveexec_b32 s1, s9
	s_cbranch_execnz .LBB4_1594
.LBB4_30:
	s_or_b32 exec_lo, exec_lo, s1
	s_and_saveexec_b32 s1, s0
	s_cbranch_execz .LBB4_32
.LBB4_31:
	s_wait_dscnt 0x0
	flat_store_b64 v[26:27], v[14:15] offset:104
.LBB4_32:
	s_wait_xcnt 0x0
	s_or_b32 exec_lo, exec_lo, s1
	s_delay_alu instid0(SALU_CYCLE_1)
	s_mov_b32 s0, exec_lo
	v_cmpx_ne_u32_e32 32, v20
	s_cbranch_execz .LBB4_1601
; %bb.33:
	s_mov_b32 s1, exec_lo
	v_cmpx_ne_u32_e64 v20, v57
	s_xor_b32 s1, exec_lo, s1
	s_cbranch_execz .LBB4_1599
; %bb.34:
	v_and_b32_e32 v0, 31, v31
	s_mov_b32 s2, exec_lo
	s_delay_alu instid0(VALU_DEP_1)
	v_cmpx_eq_u32_e32 0, v0
	s_cbranch_execz .LBB4_1598
; %bb.35:
	s_mov_b32 s4, exec_lo
	s_mov_b32 s3, exec_lo
	v_mbcnt_lo_u32_b32 v0, s4, 0
	global_wb scope:SCOPE_DEV
	s_wait_storecnt 0x0
	s_wait_loadcnt_dscnt 0x0
	global_inv scope:SCOPE_DEV
	v_cmpx_eq_u32_e32 0, v0
	s_cbranch_execz .LBB4_37
; %bb.36:
	s_bcnt1_i32_b32 s4, s4
	s_delay_alu instid0(SALU_CYCLE_1)
	v_dual_mov_b32 v1, 0 :: v_dual_mov_b32 v0, s4
	s_wait_loadcnt 0x0
	ds_add_u64 v0, v[0:1]
	s_trap 2
.LBB4_37:
	s_or_b32 exec_lo, exec_lo, s3
	s_trap 2
	ds_load_b64 v[2:3], v0
	s_wait_dscnt 0x0
	v_dual_mov_b32 v1, 0 :: v_dual_lshrrev_b32 v0, 5, v20
	s_mov_b32 s3, exec_lo
	s_delay_alu instid0(VALU_DEP_1) | instskip(NEXT) | instid1(VALU_DEP_1)
	v_add_nc_u64_e32 v[0:1], v[52:53], v[0:1]
	v_cmpx_lt_u64_e64 v[2:3], v[0:1]
	s_cbranch_execz .LBB4_1597
; %bb.38:
	s_mov_b32 s4, 0
	s_mov_b32 s7, 0
                                        ; implicit-def: $sgpr5
                                        ; implicit-def: $sgpr6
	s_branch .LBB4_40
.LBB4_39:                               ;   in Loop: Header=BB4_40 Depth=1
	s_or_b32 exec_lo, exec_lo, s9
	s_delay_alu instid0(SALU_CYCLE_1) | instskip(NEXT) | instid1(SALU_CYCLE_1)
	s_and_b32 s8, exec_lo, s10
	s_or_b32 s4, s8, s4
	s_and_not1_b32 s5, s5, exec_lo
	s_and_b32 s8, s6, exec_lo
	s_delay_alu instid0(SALU_CYCLE_1)
	s_or_b32 s5, s5, s8
	s_and_not1_b32 exec_lo, exec_lo, s4
	s_cbranch_execz .LBB4_1595
.LBB4_40:                               ; =>This Inner Loop Header: Depth=1
	s_add_co_i32 s7, s7, 1
	s_delay_alu instid0(SALU_CYCLE_1) | instskip(SKIP_1) | instid1(SALU_CYCLE_1)
	s_cmp_lg_u32 s7, 0x2710
	s_cselect_b32 s8, -1, 0
	s_and_b32 vcc_lo, exec_lo, s8
	s_cbranch_vccz .LBB4_42
; %bb.41:                               ;   in Loop: Header=BB4_40 Depth=1
	s_mov_b32 s10, -1
	s_or_b32 s6, s6, exec_lo
	s_and_saveexec_b32 s9, s8
	s_cbranch_execz .LBB4_39
	s_branch .LBB4_43
.LBB4_42:                               ;   in Loop: Header=BB4_40 Depth=1
	s_trap 2
	ds_load_b64 v[2:3], v0
	s_and_not1_b32 s8, s8, exec_lo
	s_mov_b32 s7, 0
	s_wait_loadcnt_dscnt 0x0
	flat_load_b32 v2, v[2:3] scope:SCOPE_SYS
	s_wait_loadcnt_dscnt 0x0
	global_inv scope:SCOPE_SYS
	v_cmp_eq_u32_e32 vcc_lo, 0, v2
	s_and_b32 s9, vcc_lo, exec_lo
	s_delay_alu instid0(SALU_CYCLE_1)
	s_or_b32 s8, s8, s9
	s_mov_b32 s10, -1
	s_or_b32 s6, s6, exec_lo
	s_and_saveexec_b32 s9, s8
	s_cbranch_execz .LBB4_39
.LBB4_43:                               ;   in Loop: Header=BB4_40 Depth=1
	s_sleep 1
	s_trap 2
	ds_load_b64 v[2:3], v0
	s_wait_dscnt 0x0
	s_and_not1_b32 s6, s6, exec_lo
	v_cmp_ge_u64_e32 vcc_lo, v[2:3], v[0:1]
	s_or_not1_b32 s10, vcc_lo, exec_lo
	s_branch .LBB4_39
.LBB4_44:
	v_add_nc_u64_e32 v[2:3], v[66:67], v[4:5]
	v_dual_mov_b32 v65, 0 :: v_dual_bitop2_b32 v1, 31, v31 bitop3:0x40
	s_ashr_i32 s1, s2, 31
	v_lshlrev_b32_e32 v84, 3, v0
	s_lshr_b32 s1, s1, 29
	s_delay_alu instid0(VALU_DEP_2) | instskip(NEXT) | instid1(VALU_DEP_4)
	v_mov_b32_e32 v85, v65
	v_add_nc_u64_e32 v[68:69], v[2:3], v[18:19]
	v_add_nc_u64_e32 v[2:3], v[24:25], v[10:11]
	v_dual_mov_b32 v21, v65 :: v_dual_lshlrev_b32 v58, 6, v20
	s_add_co_i32 s2, s2, s1
	s_ashr_i32 s11, s10, 31
	v_cmp_eq_u32_e64 s5, 0, v1
	v_dual_mov_b32 v87, v65 :: v_dual_mov_b32 v1, v65
	s_ashr_i32 s4, s2, 3
	s_ashr_i32 s15, s2, 7
	s_lshl_b64 s[2:3], s[10:11], 2
	v_mov_b64_e32 v[80:81], 0
	v_add_nc_u64_e32 v[70:71], s[2:3], v[22:23]
	v_cmp_ne_u64_e64 s1, 0, v[50:51]
	s_wait_dscnt 0x0
	v_cmp_ne_u64_e64 s2, 0, v[12:13]
	v_add_nc_u64_e32 v[96:97], v[10:11], v[84:85]
	v_cmp_ne_u64_e64 s6, 0, v[48:49]
	v_add_nc_u64_e32 v[8:9], v[8:9], v[84:85]
	v_add_nc_u64_e32 v[98:99], v[2:3], v[84:85]
	v_lshlrev_b64_e32 v[102:103], 4, v[20:21]
	v_mov_b64_e32 v[52:53], 0
	v_and_b32_e32 v66, 0x1fffff0, v64
	v_dual_mov_b32 v67, v65 :: v_dual_lshrrev_b32 v82, 5, v20
	s_and_b32 s11, s4, -16
	v_cmp_ne_u32_e64 s3, 32, v20
	v_cmp_ne_u32_e64 s4, v20, v57
	v_dual_mov_b32 v83, v65 :: v_dual_lshlrev_b32 v86, 3, v20
	v_lshl_add_u64 v[100:101], v[0:1], 4, v[36:37]
	v_dual_mov_b32 v1, 1 :: v_dual_mov_b32 v60, 0
	v_mov_b32_e32 v21, 0x7f800000
	v_mov_b32_e32 v59, 0x7c
	s_cmp_gt_i32 s10, 2
	s_mov_b64 s[12:13], 0xffffffffffffff
	s_mov_b32 s16, 0
	s_cselect_b32 s17, -1, 0
	s_branch .LBB4_46
.LBB4_45:                               ;   in Loop: Header=BB4_46 Depth=1
	s_wait_xcnt 0x0
	s_or_b32 exec_lo, exec_lo, s7
	v_add_nc_u64_e32 v[80:81], v[80:81], v[66:67]
	v_add_nc_u64_e32 v[34:35], 1, v[34:35]
	;; [unrolled: 1-line block ×3, first 2 shown]
	s_delay_alu instid0(VALU_DEP_3) | instskip(SKIP_1) | instid1(SALU_CYCLE_1)
	v_cmp_ge_u64_e32 vcc_lo, v[80:81], v[6:7]
	s_or_b32 s16, vcc_lo, s16
	s_and_not1_b32 exec_lo, exec_lo, s16
	s_cbranch_execz .LBB4_1593
.LBB4_46:                               ; =>This Loop Header: Depth=1
                                        ;     Child Loop BB4_51 Depth 2
                                        ;     Child Loop BB4_70 Depth 2
	;; [unrolled: 1-line block ×5, first 2 shown]
                                        ;       Child Loop BB4_340 Depth 3
                                        ;       Child Loop BB4_359 Depth 3
	;; [unrolled: 1-line block ×3, first 2 shown]
                                        ;         Child Loop BB4_388 Depth 4
                                        ;       Child Loop BB4_963 Depth 3
                                        ;       Child Loop BB4_376 Depth 3
                                        ;     Child Loop BB4_979 Depth 2
                                        ;       Child Loop BB4_987 Depth 3
                                        ;     Child Loop BB4_1581 Depth 2
	flat_load_b32 v114, v[70:71] offset:-4
	v_sub_nc_u64_e32 v[2:3], v[6:7], v[80:81]
	s_delay_alu instid0(VALU_DEP_1) | instskip(NEXT) | instid1(VALU_DEP_1)
	v_min_u64 v[2:3], v[66:67], v[2:3]
	v_lshl_add_u32 v3, v2, 1, 14
	s_delay_alu instid0(VALU_DEP_1)
	v_and_b32_e32 v30, 0x7fffff0, v3
	s_wait_xcnt 0x0
	s_and_saveexec_b32 s8, s1
	s_cbranch_execz .LBB4_62
; %bb.47:                               ;   in Loop: Header=BB4_46 Depth=1
	v_add_nc_u64_e32 v[4:5], 1, v[14:15]
	v_add_nc_u64_e32 v[18:19], 8, v[54:55]
	s_mov_b32 s18, exec_lo
	s_delay_alu instid0(VALU_DEP_1)
	v_cmpx_lt_u64_e64 v[18:19], v[4:5]
	s_cbranch_execz .LBB4_59
; %bb.48:                               ;   in Loop: Header=BB4_46 Depth=1
	s_mov_b32 s19, 0
	s_mov_b32 s23, 0
	v_cmp_eq_u32_e32 vcc_lo, 0, v60
                                        ; implicit-def: $sgpr20
                                        ; implicit-def: $sgpr21
                                        ; implicit-def: $sgpr22
	s_branch .LBB4_51
.LBB4_49:                               ;   in Loop: Header=BB4_51 Depth=2
	s_or_b32 exec_lo, exec_lo, s28
	s_delay_alu instid0(SALU_CYCLE_1)
	s_and_not1_b32 s7, s22, exec_lo
	s_and_b32 s22, s26, exec_lo
	s_and_not1_b32 s21, s21, exec_lo
	s_and_b32 s25, s25, exec_lo
	s_or_b32 s22, s7, s22
	s_or_b32 s21, s21, s25
.LBB4_50:                               ;   in Loop: Header=BB4_51 Depth=2
	s_or_b32 exec_lo, exec_lo, s24
	s_delay_alu instid0(SALU_CYCLE_1) | instskip(NEXT) | instid1(SALU_CYCLE_1)
	s_and_b32 s7, exec_lo, s21
	s_or_b32 s19, s7, s19
	s_and_not1_b32 s7, s20, exec_lo
	s_and_b32 s20, s22, exec_lo
	s_delay_alu instid0(SALU_CYCLE_1)
	s_or_b32 s20, s7, s20
	s_and_not1_b32 exec_lo, exec_lo, s19
	s_cbranch_execz .LBB4_56
.LBB4_51:                               ;   Parent Loop BB4_46 Depth=1
                                        ; =>  This Inner Loop Header: Depth=2
	s_sleep 1
	s_wait_loadcnt_dscnt 0x0
	flat_load_b64 v[54:55], v[50:51] scope:SCOPE_DEV
	v_mov_b32_e32 v60, 1
	s_or_b32 s22, s22, exec_lo
	s_or_b32 s21, s21, exec_lo
                                        ; implicit-def: $vgpr3
	s_wait_xcnt 0x0
	s_and_saveexec_b32 s24, vcc_lo
	s_cbranch_execz .LBB4_50
; %bb.52:                               ;   in Loop: Header=BB4_51 Depth=2
	s_add_co_i32 s23, s23, 1
	s_mov_b32 s25, -1
	s_cmp_lg_u32 s23, 0x2710
	s_mov_b32 s26, -1
	s_cselect_b32 s27, -1, 0
	s_cmp_eq_u32 s23, 0x2710
                                        ; implicit-def: $vgpr3
	s_cbranch_scc1 .LBB4_54
; %bb.53:                               ;   in Loop: Header=BB4_51 Depth=2
	v_mov_b32_e32 v60, 1
	s_and_saveexec_b32 s28, s27
	s_cbranch_execz .LBB4_49
	s_branch .LBB4_55
.LBB4_54:                               ;   in Loop: Header=BB4_51 Depth=2
	s_trap 2
	ds_load_b64 v[18:19], v0
	s_and_not1_b32 s23, s27, exec_lo
	s_mov_b32 s26, 0
	s_wait_storecnt 0x0
	s_wait_loadcnt_dscnt 0x0
	flat_load_b32 v3, v[18:19] scope:SCOPE_SYS
	s_wait_loadcnt_dscnt 0x0
	global_inv scope:SCOPE_SYS
	v_cmp_eq_u32_e64 s7, 0, v3
	s_and_b32 s7, s7, exec_lo
	s_delay_alu instid0(SALU_CYCLE_1)
	s_or_b32 s27, s23, s7
	s_mov_b32 s23, 0
	v_mov_b32_e32 v60, 1
	s_and_saveexec_b32 s28, s27
	s_cbranch_execz .LBB4_49
.LBB4_55:                               ;   in Loop: Header=BB4_51 Depth=2
	s_wait_loadcnt_dscnt 0x0
	v_add_nc_u64_e32 v[18:19], 8, v[54:55]
	v_mov_b32_e32 v60, 0
	s_or_b32 s26, s26, exec_lo
	s_delay_alu instid0(VALU_DEP_2)
	v_cmp_ge_u64_e64 s7, v[18:19], v[4:5]
	s_or_not1_b32 s25, s7, exec_lo
	s_branch .LBB4_49
.LBB4_56:                               ;   in Loop: Header=BB4_46 Depth=1
	s_or_b32 exec_lo, exec_lo, s19
	s_xor_b32 s7, s20, -1
	s_delay_alu instid0(SALU_CYCLE_1) | instskip(NEXT) | instid1(SALU_CYCLE_1)
	s_and_saveexec_b32 s19, s7
	s_xor_b32 s7, exec_lo, s19
	s_cbranch_execz .LBB4_58
; %bb.57:                               ;   in Loop: Header=BB4_46 Depth=1
	v_mov_b32_e32 v60, 1
	s_wait_storecnt 0x0
	s_wait_loadcnt_dscnt 0x0
	ds_store_b32 v0, v3
	s_trap 2
.LBB4_58:                               ;   in Loop: Header=BB4_46 Depth=1
	s_or_b32 exec_lo, exec_lo, s7
.LBB4_59:                               ;   in Loop: Header=BB4_46 Depth=1
	s_delay_alu instid0(SALU_CYCLE_1)
	s_or_b32 exec_lo, exec_lo, s18
	s_and_saveexec_b32 s7, s2
	s_cbranch_execz .LBB4_61
; %bb.60:                               ;   in Loop: Header=BB4_46 Depth=1
	v_and_b32_e32 v64, 0x7ffffff8, v14
	v_and_b32_e32 v3, 7, v14
	s_delay_alu instid0(VALU_DEP_2) | instskip(NEXT) | instid1(VALU_DEP_2)
	v_cmp_eq_u64_e32 vcc_lo, 0x7ffffff8, v[64:65]
	v_mad_nc_u64_u32 v[14:15], v3, 24, v[12:13]
	v_cndmask_b32_e64 v18, v30, s11, vcc_lo
	s_delay_alu instid0(VALU_DEP_1)
	v_ashrrev_i32_e32 v19, 31, v18
	flat_store_b64 v[14:15], v[18:19] offset:8 scope:SCOPE_SYS
	s_wait_storecnt 0x0
.LBB4_61:                               ;   in Loop: Header=BB4_46 Depth=1
	s_wait_xcnt 0x0
	s_or_b32 exec_lo, exec_lo, s7
	v_mov_b64_e32 v[14:15], v[4:5]
.LBB4_62:                               ;   in Loop: Header=BB4_46 Depth=1
	s_or_b32 exec_lo, exec_lo, s8
	s_and_saveexec_b32 s7, s3
	s_cbranch_execz .LBB4_81
; %bb.63:                               ;   in Loop: Header=BB4_46 Depth=1
	s_and_saveexec_b32 s8, s4
	s_delay_alu instid0(SALU_CYCLE_1)
	s_xor_b32 s8, exec_lo, s8
	s_cbranch_execz .LBB4_78
; %bb.64:                               ;   in Loop: Header=BB4_46 Depth=1
	s_and_saveexec_b32 s18, s5
	s_cbranch_execz .LBB4_77
; %bb.65:                               ;   in Loop: Header=BB4_46 Depth=1
	s_mov_b32 s20, exec_lo
	s_mov_b32 s19, exec_lo
	v_mbcnt_lo_u32_b32 v3, s20, 0
	global_wb scope:SCOPE_DEV
	s_wait_storecnt 0x0
	s_wait_loadcnt_dscnt 0x0
	global_inv scope:SCOPE_DEV
	v_cmpx_eq_u32_e32 0, v3
	s_cbranch_execz .LBB4_67
; %bb.66:                               ;   in Loop: Header=BB4_46 Depth=1
	s_bcnt1_i32_b32 s20, s20
	s_delay_alu instid0(SALU_CYCLE_1)
	v_mov_b32_e32 v64, s20
	s_wait_loadcnt 0x0
	ds_add_u64 v0, v[64:65]
	s_trap 2
.LBB4_67:                               ;   in Loop: Header=BB4_46 Depth=1
	s_or_b32 exec_lo, exec_lo, s19
	s_trap 2
	ds_load_b64 v[4:5], v0
	s_wait_dscnt 0x0
	v_add_nc_u64_e32 v[52:53], v[52:53], v[82:83]
	s_mov_b32 s19, exec_lo
	s_delay_alu instid0(VALU_DEP_1)
	v_cmpx_lt_u64_e64 v[4:5], v[52:53]
	s_cbranch_execz .LBB4_76
; %bb.68:                               ;   in Loop: Header=BB4_46 Depth=1
	s_mov_b32 s20, 0
	s_mov_b32 s23, 0
                                        ; implicit-def: $sgpr21
                                        ; implicit-def: $sgpr22
	s_branch .LBB4_70
.LBB4_69:                               ;   in Loop: Header=BB4_70 Depth=2
	s_or_b32 exec_lo, exec_lo, s25
	s_delay_alu instid0(SALU_CYCLE_1) | instskip(NEXT) | instid1(SALU_CYCLE_1)
	s_and_b32 s24, exec_lo, s26
	s_or_b32 s20, s24, s20
	s_and_not1_b32 s21, s21, exec_lo
	s_and_b32 s24, s22, exec_lo
	s_delay_alu instid0(SALU_CYCLE_1)
	s_or_b32 s21, s21, s24
	s_and_not1_b32 exec_lo, exec_lo, s20
	s_cbranch_execz .LBB4_74
.LBB4_70:                               ;   Parent Loop BB4_46 Depth=1
                                        ; =>  This Inner Loop Header: Depth=2
	s_add_co_i32 s23, s23, 1
	s_delay_alu instid0(SALU_CYCLE_1) | instskip(SKIP_1) | instid1(SALU_CYCLE_1)
	s_cmp_lg_u32 s23, 0x2710
	s_cselect_b32 s24, -1, 0
	s_and_b32 vcc_lo, exec_lo, s24
	s_cbranch_vccz .LBB4_72
; %bb.71:                               ;   in Loop: Header=BB4_70 Depth=2
	s_mov_b32 s26, -1
	s_or_b32 s22, s22, exec_lo
	s_and_saveexec_b32 s25, s24
	s_cbranch_execz .LBB4_69
	s_branch .LBB4_73
.LBB4_72:                               ;   in Loop: Header=BB4_70 Depth=2
	s_trap 2
	ds_load_b64 v[4:5], v0
	s_and_not1_b32 s24, s24, exec_lo
	s_mov_b32 s23, 0
	s_wait_loadcnt_dscnt 0x0
	flat_load_b32 v3, v[4:5] scope:SCOPE_SYS
	s_wait_loadcnt_dscnt 0x0
	global_inv scope:SCOPE_SYS
	v_cmp_eq_u32_e32 vcc_lo, 0, v3
	s_and_b32 s25, vcc_lo, exec_lo
	s_delay_alu instid0(SALU_CYCLE_1)
	s_or_b32 s24, s24, s25
	s_mov_b32 s26, -1
	s_or_b32 s22, s22, exec_lo
	s_and_saveexec_b32 s25, s24
	s_cbranch_execz .LBB4_69
.LBB4_73:                               ;   in Loop: Header=BB4_70 Depth=2
	s_sleep 1
	s_trap 2
	ds_load_b64 v[4:5], v0
	s_wait_dscnt 0x0
	s_and_not1_b32 s22, s22, exec_lo
	v_cmp_ge_u64_e32 vcc_lo, v[4:5], v[52:53]
	s_or_not1_b32 s26, vcc_lo, exec_lo
	s_branch .LBB4_69
.LBB4_74:                               ;   in Loop: Header=BB4_46 Depth=1
	s_or_b32 exec_lo, exec_lo, s20
	s_and_saveexec_b32 s20, s21
	s_delay_alu instid0(SALU_CYCLE_1)
	s_xor_b32 s20, exec_lo, s20
	s_cbranch_execz .LBB4_76
; %bb.75:                               ;   in Loop: Header=BB4_46 Depth=1
	ds_store_b32 v0, v1
	s_trap 2
.LBB4_76:                               ;   in Loop: Header=BB4_46 Depth=1
	s_or_b32 exec_lo, exec_lo, s19
	;;#ASMSTART
	s_wakeup
	;;#ASMEND
.LBB4_77:                               ;   in Loop: Header=BB4_46 Depth=1
	s_or_b32 exec_lo, exec_lo, s18
.LBB4_78:                               ;   in Loop: Header=BB4_46 Depth=1
	s_and_not1_saveexec_b32 s8, s8
	s_cbranch_execz .LBB4_80
; %bb.79:                               ;   in Loop: Header=BB4_46 Depth=1
	global_wb scope:SCOPE_DEV
	s_wait_storecnt 0x0
	s_wait_loadcnt_dscnt 0x0
	global_inv scope:SCOPE_DEV
	s_barrier_signal -1
	s_barrier_wait -1
.LBB4_80:                               ;   in Loop: Header=BB4_46 Depth=1
	s_or_b32 exec_lo, exec_lo, s8
.LBB4_81:                               ;   in Loop: Header=BB4_46 Depth=1
	s_delay_alu instid0(SALU_CYCLE_1) | instskip(SKIP_2) | instid1(VALU_DEP_2)
	s_or_b32 exec_lo, exec_lo, s7
	v_dual_mov_b32 v18, v0 :: v_dual_sub_nc_u32 v61, v2, v84
	v_dual_add_nc_u32 v3, 1, v16 :: v_dual_bitop2_b32 v19, 7, v16 bitop3:0x40
	v_cmp_lt_i32_e64 s7, 0, v61
	s_and_saveexec_b32 s18, s7
	s_cbranch_execz .LBB4_329
; %bb.82:                               ;   in Loop: Header=BB4_46 Depth=1
	s_wait_loadcnt_dscnt 0x0
	v_mad_nc_u64_u32 v[112:113], v68, v114, v[98:99]
	v_mul_lo_u32 v4, v19, s15
	v_mul_lo_u32 v18, v68, v114
	v_dual_mov_b32 v119, v61 :: v_dual_ashrrev_i32 v64, 31, v114
	s_mov_b32 s19, 0
	s_delay_alu instid0(VALU_DEP_4) | instskip(NEXT) | instid1(VALU_DEP_4)
	v_mad_u32 v2, v69, v114, v113
	v_ashrrev_i32_e32 v5, 31, v4
	s_delay_alu instid0(VALU_DEP_4) | instskip(SKIP_1) | instid1(VALU_DEP_3)
	v_add_lshl_u32 v118, v98, v18, 3
	v_mov_b32_e32 v18, v0
	v_lshl_add_u64 v[114:115], v[4:5], 4, v[100:101]
	v_mad_u32 v113, v68, v64, v2
	s_branch .LBB4_85
.LBB4_83:                               ;   in Loop: Header=BB4_85 Depth=2
	s_or_b32 exec_lo, exec_lo, s20
.LBB4_84:                               ;   in Loop: Header=BB4_85 Depth=2
	s_delay_alu instid0(SALU_CYCLE_1) | instskip(SKIP_3) | instid1(VALU_DEP_3)
	s_or_b32 exec_lo, exec_lo, s8
	v_dual_lshlrev_b32 v2, 8, v41 :: v_dual_lshlrev_b32 v5, 16, v42
	v_dual_lshlrev_b32 v64, 8, v45 :: v_dual_lshlrev_b32 v116, 16, v46
	;; [unrolled: 1-line block ×3, first 2 shown]
	v_or3_b32 v2, v2, v40, v5
	v_dual_mov_b32 v5, v3 :: v_dual_add_nc_u32 v18, v18, v20
	s_delay_alu instid0(VALU_DEP_4) | instskip(SKIP_1) | instid1(VALU_DEP_4)
	v_or3_b32 v64, v64, v44, v116
	v_sub_nc_u32_e32 v119, v119, v86
	v_or3_b32 v2, v2, v117, 0
	v_add_nc_u64_e32 v[112:113], v[112:113], v[86:87]
	v_add_nc_u32_e32 v118, v118, v58
	v_or3_b32 v4, v64, v4, 0
	v_cmp_gt_i32_e32 vcc_lo, 1, v119
	global_store_b128 v[114:115], v[2:5], off
	s_wait_xcnt 0x0
	v_add_nc_u64_e32 v[114:115], v[114:115], v[102:103]
	s_or_b32 s19, vcc_lo, s19
	s_delay_alu instid0(SALU_CYCLE_1)
	s_and_not1_b32 exec_lo, exec_lo, s19
	s_cbranch_execz .LBB4_328
.LBB4_85:                               ;   Parent Loop BB4_46 Depth=1
                                        ; =>  This Inner Loop Header: Depth=2
	s_delay_alu instid0(VALU_DEP_1)
	v_dual_mov_b32 v5, v113 :: v_dual_bitop2_b32 v4, -4, v112 bitop3:0x40
	v_min_u32_e32 v64, 8, v119
	v_dual_mov_b32 v44, 0 :: v_dual_bitop2_b32 v116, 3, v112 bitop3:0x40
	v_mov_b32_e32 v45, 0
	global_load_b32 v2, v[4:5], off th:TH_LOAD_NT
	s_mov_b32 s8, exec_lo
	v_add_nc_u32_e32 v64, v116, v64
	s_wait_xcnt 0x0
	s_delay_alu instid0(VALU_DEP_1)
	v_cmpx_lt_u32_e32 4, v64
	s_cbranch_execz .LBB4_87
; %bb.86:                               ;   in Loop: Header=BB4_85 Depth=2
	global_load_b32 v45, v[4:5], off offset:4 th:TH_LOAD_NT
.LBB4_87:                               ;   in Loop: Header=BB4_85 Depth=2
	s_wait_xcnt 0x0
	s_or_b32 exec_lo, exec_lo, s8
	s_delay_alu instid0(SALU_CYCLE_1)
	s_mov_b32 s8, exec_lo
	v_cmpx_lt_u64_e32 8, v[64:65]
	s_cbranch_execz .LBB4_89
; %bb.88:                               ;   in Loop: Header=BB4_85 Depth=2
	global_load_b32 v44, v[4:5], off offset:8 th:TH_LOAD_NT
.LBB4_89:                               ;   in Loop: Header=BB4_85 Depth=2
	s_wait_xcnt 0x0
	s_or_b32 exec_lo, exec_lo, s8
	s_wait_loadcnt 0x0
	v_alignbit_b32 v64, v45, v2, v118
	s_delay_alu instid0(VALU_DEP_1) | instskip(NEXT) | instid1(VALU_DEP_1)
	v_and_b32_e32 v2, 0xff, v64
	v_cmp_ne_u16_e32 vcc_lo, 0, v2
	v_mov_b32_e32 v2, 0
	s_and_saveexec_b32 s8, vcc_lo
	s_cbranch_execz .LBB4_99
; %bb.90:                               ;   in Loop: Header=BB4_85 Depth=2
	v_bfe_i32 v5, v64, 0, 8
	v_bfrev_b32_e32 v2, 1
	s_mov_b32 s20, exec_lo
	s_delay_alu instid0(VALU_DEP_2)
	v_cmpx_ne_u16_e32 0xff80, v5
	s_cbranch_execz .LBB4_98
; %bb.91:                               ;   in Loop: Header=BB4_85 Depth=2
	v_and_b32_e32 v2, 0x7c, v64
	v_and_b32_e32 v4, 3, v64
	s_delay_alu instid0(VALU_DEP_2) | instskip(SKIP_1) | instid1(SALU_CYCLE_1)
	v_cmp_ne_u32_e32 vcc_lo, 0x7c, v2
                                        ; implicit-def: $vgpr2
	s_and_saveexec_b32 s21, vcc_lo
	s_xor_b32 s21, exec_lo, s21
	s_cbranch_execz .LBB4_95
; %bb.92:                               ;   in Loop: Header=BB4_85 Depth=2
	v_bfe_u32 v2, v64, 2, 5
	s_mov_b32 s22, exec_lo
	s_delay_alu instid0(VALU_DEP_1)
	v_cmpx_eq_u32_e32 0, v2
; %bb.93:                               ;   in Loop: Header=BB4_85 Depth=2
	v_clz_i32_u32_e32 v2, v4
	s_delay_alu instid0(VALU_DEP_1) | instskip(NEXT) | instid1(VALU_DEP_1)
	v_min_u32_e32 v2, 32, v2
	v_subrev_nc_u32_e32 v4, 29, v2
	s_delay_alu instid0(VALU_DEP_1) | instskip(NEXT) | instid1(VALU_DEP_1)
	v_lshlrev_b64_e32 v[4:5], v4, v[64:65]
	v_dual_sub_nc_u32 v2, 30, v2 :: v_dual_bitop2_b32 v4, 3, v4 bitop3:0x40
; %bb.94:                               ;   in Loop: Header=BB4_85 Depth=2
	s_or_b32 exec_lo, exec_lo, s22
	v_lshlrev_b32_e32 v5, 24, v64
	s_delay_alu instid0(VALU_DEP_1) | instskip(NEXT) | instid1(VALU_DEP_1)
	v_and_b32_e32 v5, 0x80000000, v5
	v_lshl_add_u32 v2, v2, 23, v5
                                        ; implicit-def: $vgpr5
	s_delay_alu instid0(VALU_DEP_1) | instskip(NEXT) | instid1(VALU_DEP_1)
	v_lshl_or_b32 v2, v4, 21, v2
                                        ; implicit-def: $vgpr4
	v_add_nc_u32_e32 v2, 0x38000000, v2
.LBB4_95:                               ;   in Loop: Header=BB4_85 Depth=2
	s_and_not1_saveexec_b32 s21, s21
; %bb.96:                               ;   in Loop: Header=BB4_85 Depth=2
	v_cmp_lt_i16_e32 vcc_lo, -1, v5
	v_cndmask_b32_e32 v2, 0xff800000, v21, vcc_lo
	v_cmp_eq_u32_e32 vcc_lo, 0, v4
	s_delay_alu instid0(VALU_DEP_2)
	v_cndmask_b32_e32 v2, 0x7f800001, v2, vcc_lo
; %bb.97:                               ;   in Loop: Header=BB4_85 Depth=2
	s_or_b32 exec_lo, exec_lo, s21
.LBB4_98:                               ;   in Loop: Header=BB4_85 Depth=2
	s_delay_alu instid0(SALU_CYCLE_1)
	s_or_b32 exec_lo, exec_lo, s20
.LBB4_99:                               ;   in Loop: Header=BB4_85 Depth=2
	s_delay_alu instid0(SALU_CYCLE_1) | instskip(NEXT) | instid1(VALU_DEP_1)
	s_or_b32 exec_lo, exec_lo, s8
	v_dual_mul_f32 v116, v56, v2 :: v_dual_mov_b32 v41, v65
	s_delay_alu instid0(VALU_DEP_1) | instskip(SKIP_2) | instid1(VALU_DEP_2)
	v_dual_mov_b32 v5, v65 :: v_dual_lshrrev_b32 v2, 24, v116
	v_and_b32_e32 v40, 0x7f800000, v116
	v_and_b32_e32 v4, 0x7fffff, v116
	v_cmp_ne_u64_e32 vcc_lo, 0x7f800000, v[40:41]
                                        ; implicit-def: $vgpr40
	s_and_saveexec_b32 s8, vcc_lo
	s_delay_alu instid0(SALU_CYCLE_1)
	s_xor_b32 s20, exec_lo, s8
	s_cbranch_execz .LBB4_113
; %bb.100:                              ;   in Loop: Header=BB4_85 Depth=2
	v_and_b32_e32 v40, 0x7fffffff, v116
	v_mov_b32_e32 v41, v65
	v_and_b32_e32 v2, 0x80, v2
	s_delay_alu instid0(VALU_DEP_2) | instskip(SKIP_1) | instid1(SALU_CYCLE_1)
	v_cmp_gt_u64_e32 vcc_lo, 0x47600001, v[40:41]
                                        ; implicit-def: $vgpr40
	s_and_saveexec_b32 s8, vcc_lo
	s_xor_b32 s21, exec_lo, s8
	s_cbranch_execz .LBB4_110
; %bb.101:                              ;   in Loop: Header=BB4_85 Depth=2
	v_mov_b32_e32 v40, 0
	s_mov_b32 s22, exec_lo
	v_cmpx_ne_u32_e32 0, v116
	s_cbranch_execz .LBB4_109
; %bb.102:                              ;   in Loop: Header=BB4_85 Depth=2
	v_bfe_u32 v40, v116, 23, 8
	v_or_b32_e32 v42, 0x800000, v4
	s_delay_alu instid0(VALU_DEP_2) | instskip(SKIP_1) | instid1(VALU_DEP_2)
	v_sub_nc_u32_e32 v116, 0x71, v40
	v_cmp_gt_u32_e32 vcc_lo, 0x72, v40
	v_cndmask_b32_e32 v116, 0, v116, vcc_lo
	v_cmp_eq_u32_e32 vcc_lo, 0, v40
	s_delay_alu instid0(VALU_DEP_2) | instskip(NEXT) | instid1(VALU_DEP_1)
	v_cndmask_b32_e64 v41, v116, 0x70, vcc_lo
	v_dual_cndmask_b32 v4, v42, v4, vcc_lo :: v_dual_add_nc_u32 v116, 21, v41
	v_add_nc_u32_e32 v43, 20, v41
	s_delay_alu instid0(VALU_DEP_2) | instskip(NEXT) | instid1(VALU_DEP_2)
	v_lshlrev_b64_e64 v[116:117], v116, -1
	v_lshlrev_b64_e64 v[42:43], v43, 1
	s_delay_alu instid0(VALU_DEP_2) | instskip(SKIP_1) | instid1(VALU_DEP_4)
	v_bfi_b32 v116, v116, 0, v4
	v_lshrrev_b64 v[4:5], v41, v[4:5]
	v_bfi_b32 v117, v117, 0, 0
	s_delay_alu instid0(VALU_DEP_1) | instskip(NEXT) | instid1(VALU_DEP_3)
	v_cmp_eq_u64_e64 s8, v[116:117], v[42:43]
	v_mov_b64_e32 v[116:117], v[4:5]
	s_and_saveexec_b32 s23, s8
; %bb.103:                              ;   in Loop: Header=BB4_85 Depth=2
	v_bfe_u32 v116, v4, 21, 1
	v_mov_b32_e32 v117, v65
	s_delay_alu instid0(VALU_DEP_1) | instskip(NEXT) | instid1(VALU_DEP_1)
	v_add_nc_u64_e32 v[116:117], v[4:5], v[116:117]
	v_add_nc_u64_e32 v[116:117], -1, v[116:117]
; %bb.104:                              ;   in Loop: Header=BB4_85 Depth=2
	s_or_b32 exec_lo, exec_lo, s23
	v_add_nc_u32_e32 v5, 0xffffff81, v40
	v_lshrrev_b32_e32 v117, 23, v4
	s_mov_b32 s8, exec_lo
	s_delay_alu instid0(VALU_DEP_2) | instskip(NEXT) | instid1(VALU_DEP_1)
	v_cndmask_b32_e64 v5, v5, 0xffffff82, vcc_lo
	v_add3_u32 v117, v41, v5, v117
	v_and_b32_e32 v5, 0x1fffff, v116
                                        ; implicit-def: $vgpr116
	s_delay_alu instid0(VALU_DEP_1) | instskip(SKIP_1) | instid1(VALU_DEP_2)
	v_dual_add_nc_u32 v40, 14, v117 :: v_dual_add_nc_u32 v4, v5, v4
	v_mov_b32_e32 v5, v65
	v_cmpx_ne_u32_e32 0, v40
	s_xor_b32 s8, exec_lo, s8
; %bb.105:                              ;   in Loop: Header=BB4_85 Depth=2
	s_delay_alu instid0(VALU_DEP_2) | instskip(SKIP_2) | instid1(VALU_DEP_2)
	v_cmp_lt_u64_e32 vcc_lo, 0xffffff, v[4:5]
	v_add_nc_u32_e32 v116, 15, v117
	v_cndmask_b32_e64 v117, 0, 1, vcc_lo
	v_cndmask_b32_e32 v116, v40, v116, vcc_lo
	s_delay_alu instid0(VALU_DEP_2)
	v_lshrrev_b64 v[4:5], v117, v[4:5]
; %bb.106:                              ;   in Loop: Header=BB4_85 Depth=2
	s_and_not1_saveexec_b32 s8, s8
; %bb.107:                              ;   in Loop: Header=BB4_85 Depth=2
	s_delay_alu instid0(VALU_DEP_1)
	v_bfe_u32 v116, v4, 23, 1
; %bb.108:                              ;   in Loop: Header=BB4_85 Depth=2
	s_or_b32 exec_lo, exec_lo, s8
	s_delay_alu instid0(VALU_DEP_2) | instskip(NEXT) | instid1(VALU_DEP_2)
	v_lshrrev_b64 v[4:5], 21, v[4:5]
	v_cmp_gt_i32_e32 vcc_lo, 32, v116
	v_min_i32_e32 v117, 31, v116
	v_cmp_eq_u32_e64 s8, 0, v116
	s_delay_alu instid0(VALU_DEP_4) | instskip(NEXT) | instid1(VALU_DEP_3)
	v_cndmask_b32_e32 v5, 0, v5, vcc_lo
	v_dual_cndmask_b32 v4, 3, v4 :: v_dual_lshlrev_b32 v117, 2, v117
	s_delay_alu instid0(VALU_DEP_1) | instskip(NEXT) | instid1(VALU_DEP_2)
	v_and_b32_e32 v117, 0xfc, v117
	v_cmp_eq_u64_e32 vcc_lo, 0, v[4:5]
	s_delay_alu instid0(VALU_DEP_2)
	v_and_or_b32 v4, v4, 3, v117
	s_and_b32 s8, s8, vcc_lo
	s_delay_alu instid0(VALU_DEP_1) | instid1(SALU_CYCLE_1)
	v_cndmask_b32_e64 v4, v4, 0, s8
	s_delay_alu instid0(VALU_DEP_1)
	v_or_b32_e32 v40, v4, v2
.LBB4_109:                              ;   in Loop: Header=BB4_85 Depth=2
	s_or_b32 exec_lo, exec_lo, s22
                                        ; implicit-def: $vgpr2
.LBB4_110:                              ;   in Loop: Header=BB4_85 Depth=2
	s_and_not1_saveexec_b32 s8, s21
; %bb.111:                              ;   in Loop: Header=BB4_85 Depth=2
	v_or_b32_e32 v40, 0x7b, v2
; %bb.112:                              ;   in Loop: Header=BB4_85 Depth=2
	s_or_b32 exec_lo, exec_lo, s8
                                        ; implicit-def: $vgpr116
                                        ; implicit-def: $vgpr4_vgpr5
                                        ; implicit-def: $vgpr2
.LBB4_113:                              ;   in Loop: Header=BB4_85 Depth=2
	s_and_not1_saveexec_b32 s8, s20
	s_cbranch_execz .LBB4_119
; %bb.114:                              ;   in Loop: Header=BB4_85 Depth=2
	s_mov_b32 s20, exec_lo
                                        ; implicit-def: $vgpr40
	v_cmpx_ne_u64_e32 0, v[4:5]
	s_xor_b32 s20, exec_lo, s20
; %bb.115:                              ;   in Loop: Header=BB4_85 Depth=2
	v_or_b32_e32 v40, 0x7f, v2
                                        ; implicit-def: $vgpr116
; %bb.116:                              ;   in Loop: Header=BB4_85 Depth=2
	s_and_not1_saveexec_b32 s20, s20
; %bb.117:                              ;   in Loop: Header=BB4_85 Depth=2
	v_cmp_lt_i32_e32 vcc_lo, -1, v116
	v_cndmask_b32_e32 v40, 0xfc, v59, vcc_lo
; %bb.118:                              ;   in Loop: Header=BB4_85 Depth=2
	s_or_b32 exec_lo, exec_lo, s20
.LBB4_119:                              ;   in Loop: Header=BB4_85 Depth=2
	s_delay_alu instid0(SALU_CYCLE_1) | instskip(SKIP_3) | instid1(VALU_DEP_2)
	s_or_b32 exec_lo, exec_lo, s8
	v_lshrrev_b16 v4, 8, v64
	v_mov_b32_e32 v5, 0
	s_mov_b32 s8, exec_lo
	v_cmpx_ne_u16_e32 0, v4
	s_cbranch_execz .LBB4_129
; %bb.120:                              ;   in Loop: Header=BB4_85 Depth=2
	v_bfrev_b32_e32 v5, 1
	s_mov_b32 s20, exec_lo
	v_cmpx_ne_u16_e32 0x80, v4
	s_cbranch_execz .LBB4_128
; %bb.121:                              ;   in Loop: Header=BB4_85 Depth=2
	v_and_b32_e32 v116, 0xffff, v4
	s_delay_alu instid0(VALU_DEP_1) | instskip(SKIP_1) | instid1(VALU_DEP_2)
	v_and_b32_e32 v5, 0x7c, v116
	v_and_b32_e32 v2, 3, v116
	v_cmp_ne_u32_e32 vcc_lo, 0x7c, v5
                                        ; implicit-def: $vgpr5
	s_and_saveexec_b32 s21, vcc_lo
	s_delay_alu instid0(SALU_CYCLE_1)
	s_xor_b32 s21, exec_lo, s21
	s_cbranch_execz .LBB4_125
; %bb.122:                              ;   in Loop: Header=BB4_85 Depth=2
	v_bfe_u32 v5, v116, 2, 5
	s_mov_b32 s22, exec_lo
	s_delay_alu instid0(VALU_DEP_1)
	v_cmpx_eq_u32_e32 0, v5
; %bb.123:                              ;   in Loop: Header=BB4_85 Depth=2
	v_clz_i32_u32_e32 v2, v2
	v_mov_b32_e32 v5, v65
	s_delay_alu instid0(VALU_DEP_2) | instskip(NEXT) | instid1(VALU_DEP_1)
	v_min_u32_e32 v2, 32, v2
	v_subrev_nc_u32_e32 v116, 29, v2
	s_delay_alu instid0(VALU_DEP_1) | instskip(NEXT) | instid1(VALU_DEP_1)
	v_lshlrev_b64_e32 v[4:5], v116, v[4:5]
	v_dual_sub_nc_u32 v5, 30, v2 :: v_dual_bitop2_b32 v2, 3, v4 bitop3:0x40
; %bb.124:                              ;   in Loop: Header=BB4_85 Depth=2
	s_or_b32 exec_lo, exec_lo, s22
	v_lshlrev_b32_e32 v4, 16, v64
	s_delay_alu instid0(VALU_DEP_1) | instskip(NEXT) | instid1(VALU_DEP_1)
	v_and_b32_e32 v4, 0x80000000, v4
	v_lshl_add_u32 v4, v5, 23, v4
	s_delay_alu instid0(VALU_DEP_1) | instskip(NEXT) | instid1(VALU_DEP_1)
	v_lshl_or_b32 v2, v2, 21, v4
	v_add_nc_u32_e32 v5, 0x38000000, v2
                                        ; implicit-def: $vgpr2
.LBB4_125:                              ;   in Loop: Header=BB4_85 Depth=2
	s_and_not1_saveexec_b32 s21, s21
; %bb.126:                              ;   in Loop: Header=BB4_85 Depth=2
	v_cmp_lt_i16_e32 vcc_lo, -1, v64
	v_cndmask_b32_e32 v4, 0xff800000, v21, vcc_lo
	v_cmp_eq_u32_e32 vcc_lo, 0, v2
	s_delay_alu instid0(VALU_DEP_2)
	v_cndmask_b32_e32 v5, 0x7f800001, v4, vcc_lo
; %bb.127:                              ;   in Loop: Header=BB4_85 Depth=2
	s_or_b32 exec_lo, exec_lo, s21
.LBB4_128:                              ;   in Loop: Header=BB4_85 Depth=2
	s_delay_alu instid0(SALU_CYCLE_1)
	s_or_b32 exec_lo, exec_lo, s20
.LBB4_129:                              ;   in Loop: Header=BB4_85 Depth=2
	s_delay_alu instid0(SALU_CYCLE_1) | instskip(NEXT) | instid1(VALU_DEP_1)
	s_or_b32 exec_lo, exec_lo, s8
	v_dual_mul_f32 v116, v56, v5 :: v_dual_mov_b32 v43, v65
	v_mov_b32_e32 v5, v65
                                        ; implicit-def: $vgpr41
	s_mov_b32 s8, exec_lo
	s_delay_alu instid0(VALU_DEP_2) | instskip(SKIP_2) | instid1(VALU_DEP_3)
	v_and_b32_e32 v42, 0x7f800000, v116
	v_and_b32_e32 v4, 0x7fffff, v116
	v_lshrrev_b32_e32 v2, 24, v116
	v_cmpx_ne_u64_e32 0x7f800000, v[42:43]
	s_xor_b32 s20, exec_lo, s8
	s_cbranch_execz .LBB4_143
; %bb.130:                              ;   in Loop: Header=BB4_85 Depth=2
	v_and_b32_e32 v42, 0x7fffffff, v116
	v_mov_b32_e32 v43, v65
	v_and_b32_e32 v2, 0x80, v2
                                        ; implicit-def: $vgpr41
	s_mov_b32 s8, exec_lo
	s_delay_alu instid0(VALU_DEP_2)
	v_cmpx_gt_u64_e32 0x47600001, v[42:43]
	s_xor_b32 s21, exec_lo, s8
	s_cbranch_execz .LBB4_140
; %bb.131:                              ;   in Loop: Header=BB4_85 Depth=2
	v_mov_b32_e32 v41, 0
	s_mov_b32 s22, exec_lo
	v_cmpx_ne_u32_e32 0, v116
	s_cbranch_execz .LBB4_139
; %bb.132:                              ;   in Loop: Header=BB4_85 Depth=2
	v_bfe_u32 v41, v116, 23, 8
	v_or_b32_e32 v43, 0x800000, v4
	s_delay_alu instid0(VALU_DEP_2) | instskip(SKIP_1) | instid1(VALU_DEP_2)
	v_sub_nc_u32_e32 v116, 0x71, v41
	v_cmp_gt_u32_e32 vcc_lo, 0x72, v41
	v_cndmask_b32_e32 v116, 0, v116, vcc_lo
	v_cmp_eq_u32_e32 vcc_lo, 0, v41
	s_delay_alu instid0(VALU_DEP_2) | instskip(NEXT) | instid1(VALU_DEP_1)
	v_cndmask_b32_e64 v42, v116, 0x70, vcc_lo
	v_dual_cndmask_b32 v4, v43, v4, vcc_lo :: v_dual_add_nc_u32 v116, 21, v42
	v_add_nc_u32_e32 v46, 20, v42
	s_delay_alu instid0(VALU_DEP_2) | instskip(NEXT) | instid1(VALU_DEP_2)
	v_lshlrev_b64_e64 v[116:117], v116, -1
	v_lshlrev_b64_e64 v[46:47], v46, 1
	s_delay_alu instid0(VALU_DEP_2) | instskip(SKIP_1) | instid1(VALU_DEP_4)
	v_bfi_b32 v116, v116, 0, v4
	v_lshrrev_b64 v[4:5], v42, v[4:5]
	v_bfi_b32 v117, v117, 0, 0
	s_delay_alu instid0(VALU_DEP_1) | instskip(NEXT) | instid1(VALU_DEP_3)
	v_cmp_eq_u64_e64 s8, v[116:117], v[46:47]
	v_mov_b64_e32 v[116:117], v[4:5]
	s_and_saveexec_b32 s23, s8
; %bb.133:                              ;   in Loop: Header=BB4_85 Depth=2
	v_bfe_u32 v116, v4, 21, 1
	v_mov_b32_e32 v117, v65
	s_delay_alu instid0(VALU_DEP_1) | instskip(NEXT) | instid1(VALU_DEP_1)
	v_add_nc_u64_e32 v[116:117], v[4:5], v[116:117]
	v_add_nc_u64_e32 v[116:117], -1, v[116:117]
; %bb.134:                              ;   in Loop: Header=BB4_85 Depth=2
	s_or_b32 exec_lo, exec_lo, s23
	v_add_nc_u32_e32 v5, 0xffffff81, v41
	v_lshrrev_b32_e32 v117, 23, v4
	s_mov_b32 s8, exec_lo
	s_delay_alu instid0(VALU_DEP_2) | instskip(NEXT) | instid1(VALU_DEP_1)
	v_cndmask_b32_e64 v5, v5, 0xffffff82, vcc_lo
	v_add3_u32 v117, v42, v5, v117
	v_and_b32_e32 v5, 0x1fffff, v116
                                        ; implicit-def: $vgpr116
	s_delay_alu instid0(VALU_DEP_1) | instskip(SKIP_1) | instid1(VALU_DEP_2)
	v_dual_add_nc_u32 v41, 14, v117 :: v_dual_add_nc_u32 v4, v5, v4
	v_mov_b32_e32 v5, v65
	v_cmpx_ne_u32_e32 0, v41
	s_xor_b32 s8, exec_lo, s8
; %bb.135:                              ;   in Loop: Header=BB4_85 Depth=2
	s_delay_alu instid0(VALU_DEP_2) | instskip(SKIP_2) | instid1(VALU_DEP_2)
	v_cmp_lt_u64_e32 vcc_lo, 0xffffff, v[4:5]
	v_add_nc_u32_e32 v116, 15, v117
	v_cndmask_b32_e64 v117, 0, 1, vcc_lo
	v_cndmask_b32_e32 v116, v41, v116, vcc_lo
	s_delay_alu instid0(VALU_DEP_2)
	v_lshrrev_b64 v[4:5], v117, v[4:5]
; %bb.136:                              ;   in Loop: Header=BB4_85 Depth=2
	s_and_not1_saveexec_b32 s8, s8
; %bb.137:                              ;   in Loop: Header=BB4_85 Depth=2
	s_delay_alu instid0(VALU_DEP_1)
	v_bfe_u32 v116, v4, 23, 1
; %bb.138:                              ;   in Loop: Header=BB4_85 Depth=2
	s_or_b32 exec_lo, exec_lo, s8
	s_delay_alu instid0(VALU_DEP_2) | instskip(NEXT) | instid1(VALU_DEP_2)
	v_lshrrev_b64 v[4:5], 21, v[4:5]
	v_cmp_gt_i32_e32 vcc_lo, 32, v116
	v_min_i32_e32 v117, 31, v116
	v_cmp_eq_u32_e64 s8, 0, v116
	s_delay_alu instid0(VALU_DEP_4) | instskip(NEXT) | instid1(VALU_DEP_3)
	v_cndmask_b32_e32 v5, 0, v5, vcc_lo
	v_dual_cndmask_b32 v4, 3, v4 :: v_dual_lshlrev_b32 v117, 2, v117
	s_delay_alu instid0(VALU_DEP_1) | instskip(NEXT) | instid1(VALU_DEP_2)
	v_and_b32_e32 v117, 0xfc, v117
	v_cmp_eq_u64_e32 vcc_lo, 0, v[4:5]
	s_delay_alu instid0(VALU_DEP_2)
	v_and_or_b32 v4, v4, 3, v117
	s_and_b32 s8, s8, vcc_lo
	s_delay_alu instid0(VALU_DEP_1) | instid1(SALU_CYCLE_1)
	v_cndmask_b32_e64 v4, v4, 0, s8
	s_delay_alu instid0(VALU_DEP_1)
	v_or_b32_e32 v41, v4, v2
.LBB4_139:                              ;   in Loop: Header=BB4_85 Depth=2
	s_or_b32 exec_lo, exec_lo, s22
                                        ; implicit-def: $vgpr2
.LBB4_140:                              ;   in Loop: Header=BB4_85 Depth=2
	s_and_not1_saveexec_b32 s8, s21
; %bb.141:                              ;   in Loop: Header=BB4_85 Depth=2
	v_or_b32_e32 v41, 0x7b, v2
; %bb.142:                              ;   in Loop: Header=BB4_85 Depth=2
	s_or_b32 exec_lo, exec_lo, s8
                                        ; implicit-def: $vgpr116
                                        ; implicit-def: $vgpr4_vgpr5
                                        ; implicit-def: $vgpr2
.LBB4_143:                              ;   in Loop: Header=BB4_85 Depth=2
	s_and_not1_saveexec_b32 s8, s20
	s_cbranch_execz .LBB4_149
; %bb.144:                              ;   in Loop: Header=BB4_85 Depth=2
	s_mov_b32 s20, exec_lo
                                        ; implicit-def: $vgpr41
	v_cmpx_ne_u64_e32 0, v[4:5]
	s_xor_b32 s20, exec_lo, s20
; %bb.145:                              ;   in Loop: Header=BB4_85 Depth=2
	v_or_b32_e32 v41, 0x7f, v2
                                        ; implicit-def: $vgpr116
; %bb.146:                              ;   in Loop: Header=BB4_85 Depth=2
	s_and_not1_saveexec_b32 s20, s20
; %bb.147:                              ;   in Loop: Header=BB4_85 Depth=2
	v_cmp_lt_i32_e32 vcc_lo, -1, v116
	v_cndmask_b32_e32 v41, 0xfc, v59, vcc_lo
; %bb.148:                              ;   in Loop: Header=BB4_85 Depth=2
	s_or_b32 exec_lo, exec_lo, s20
.LBB4_149:                              ;   in Loop: Header=BB4_85 Depth=2
	s_delay_alu instid0(SALU_CYCLE_1) | instskip(SKIP_2) | instid1(VALU_DEP_1)
	s_or_b32 exec_lo, exec_lo, s8
	v_dual_mov_b32 v2, 0 :: v_dual_lshrrev_b32 v5, 16, v64
	s_mov_b32 s8, exec_lo
	v_and_b32_e32 v4, 0xff, v5
	s_delay_alu instid0(VALU_DEP_1)
	v_cmpx_ne_u16_e32 0, v4
	s_cbranch_execz .LBB4_159
; %bb.150:                              ;   in Loop: Header=BB4_85 Depth=2
	v_bfrev_b32_e32 v2, 1
	s_mov_b32 s20, exec_lo
	v_cmpx_ne_u16_e32 0x80, v4
	s_cbranch_execz .LBB4_158
; %bb.151:                              ;   in Loop: Header=BB4_85 Depth=2
	v_and_b32_e32 v2, 0x7c0000, v64
	v_bfe_u32 v4, v64, 16, 2
	s_delay_alu instid0(VALU_DEP_2) | instskip(SKIP_1) | instid1(SALU_CYCLE_1)
	v_cmp_ne_u32_e32 vcc_lo, 0x7c0000, v2
                                        ; implicit-def: $vgpr2
	s_and_saveexec_b32 s21, vcc_lo
	s_xor_b32 s21, exec_lo, s21
	s_cbranch_execz .LBB4_155
; %bb.152:                              ;   in Loop: Header=BB4_85 Depth=2
	v_bfe_u32 v5, v64, 18, 5
	v_lshrrev_b32_e32 v2, 16, v64
	s_mov_b32 s22, exec_lo
	s_delay_alu instid0(VALU_DEP_2)
	v_cmpx_eq_u32_e32 0, v5
; %bb.153:                              ;   in Loop: Header=BB4_85 Depth=2
	v_clz_i32_u32_e32 v4, v4
	s_delay_alu instid0(VALU_DEP_1) | instskip(NEXT) | instid1(VALU_DEP_1)
	v_min_u32_e32 v116, 32, v4
	v_subrev_nc_u32_e32 v4, 29, v116
	s_delay_alu instid0(VALU_DEP_1) | instskip(SKIP_1) | instid1(VALU_DEP_2)
	v_lshlrev_b64_e32 v[4:5], v4, v[2:3]
	v_sub_nc_u32_e32 v5, 30, v116
	v_and_b32_e32 v4, 3, v4
; %bb.154:                              ;   in Loop: Header=BB4_85 Depth=2
	s_or_b32 exec_lo, exec_lo, s22
	v_lshlrev_b32_e32 v2, 24, v2
	s_delay_alu instid0(VALU_DEP_1) | instskip(NEXT) | instid1(VALU_DEP_1)
	v_and_b32_e32 v2, 0x80000000, v2
	v_lshl_add_u32 v2, v5, 23, v2
                                        ; implicit-def: $vgpr5
	s_delay_alu instid0(VALU_DEP_1) | instskip(NEXT) | instid1(VALU_DEP_1)
	v_lshl_or_b32 v2, v4, 21, v2
                                        ; implicit-def: $vgpr4
	v_add_nc_u32_e32 v2, 0x38000000, v2
.LBB4_155:                              ;   in Loop: Header=BB4_85 Depth=2
	s_and_not1_saveexec_b32 s21, s21
; %bb.156:                              ;   in Loop: Header=BB4_85 Depth=2
	v_bfe_i32 v2, v5, 0, 8
	s_delay_alu instid0(VALU_DEP_1) | instskip(SKIP_2) | instid1(VALU_DEP_2)
	v_cmp_lt_i16_e32 vcc_lo, -1, v2
	v_cndmask_b32_e32 v2, 0xff800000, v21, vcc_lo
	v_cmp_eq_u32_e32 vcc_lo, 0, v4
	v_cndmask_b32_e32 v2, 0x7f800001, v2, vcc_lo
; %bb.157:                              ;   in Loop: Header=BB4_85 Depth=2
	s_or_b32 exec_lo, exec_lo, s21
.LBB4_158:                              ;   in Loop: Header=BB4_85 Depth=2
	s_delay_alu instid0(SALU_CYCLE_1)
	s_or_b32 exec_lo, exec_lo, s20
.LBB4_159:                              ;   in Loop: Header=BB4_85 Depth=2
	s_delay_alu instid0(SALU_CYCLE_1) | instskip(NEXT) | instid1(VALU_DEP_1)
	s_or_b32 exec_lo, exec_lo, s8
	v_dual_mul_f32 v116, v56, v2 :: v_dual_mov_b32 v43, v65
	s_delay_alu instid0(VALU_DEP_1) | instskip(SKIP_2) | instid1(VALU_DEP_2)
	v_dual_mov_b32 v5, v65 :: v_dual_lshrrev_b32 v2, 24, v116
	v_and_b32_e32 v42, 0x7f800000, v116
	v_and_b32_e32 v4, 0x7fffff, v116
	v_cmp_ne_u64_e32 vcc_lo, 0x7f800000, v[42:43]
                                        ; implicit-def: $vgpr42
	s_and_saveexec_b32 s8, vcc_lo
	s_delay_alu instid0(SALU_CYCLE_1)
	s_xor_b32 s20, exec_lo, s8
	s_cbranch_execz .LBB4_173
; %bb.160:                              ;   in Loop: Header=BB4_85 Depth=2
	v_and_b32_e32 v42, 0x7fffffff, v116
	v_mov_b32_e32 v43, v65
	v_and_b32_e32 v2, 0x80, v2
	s_delay_alu instid0(VALU_DEP_2) | instskip(SKIP_1) | instid1(SALU_CYCLE_1)
	v_cmp_gt_u64_e32 vcc_lo, 0x47600001, v[42:43]
                                        ; implicit-def: $vgpr42
	s_and_saveexec_b32 s8, vcc_lo
	s_xor_b32 s21, exec_lo, s8
	s_cbranch_execz .LBB4_170
; %bb.161:                              ;   in Loop: Header=BB4_85 Depth=2
	v_mov_b32_e32 v42, 0
	s_mov_b32 s22, exec_lo
	v_cmpx_ne_u32_e32 0, v116
	s_cbranch_execz .LBB4_169
; %bb.162:                              ;   in Loop: Header=BB4_85 Depth=2
	v_bfe_u32 v42, v116, 23, 8
	v_or_b32_e32 v46, 0x800000, v4
	s_delay_alu instid0(VALU_DEP_2) | instskip(SKIP_1) | instid1(VALU_DEP_2)
	v_sub_nc_u32_e32 v116, 0x71, v42
	v_cmp_gt_u32_e32 vcc_lo, 0x72, v42
	v_cndmask_b32_e32 v116, 0, v116, vcc_lo
	v_cmp_eq_u32_e32 vcc_lo, 0, v42
	s_delay_alu instid0(VALU_DEP_2) | instskip(NEXT) | instid1(VALU_DEP_1)
	v_cndmask_b32_e64 v43, v116, 0x70, vcc_lo
	v_dual_cndmask_b32 v4, v46, v4, vcc_lo :: v_dual_add_nc_u32 v116, 21, v43
	v_add_nc_u32_e32 v47, 20, v43
	s_delay_alu instid0(VALU_DEP_2) | instskip(NEXT) | instid1(VALU_DEP_2)
	v_lshlrev_b64_e64 v[116:117], v116, -1
	v_lshlrev_b64_e64 v[46:47], v47, 1
	s_delay_alu instid0(VALU_DEP_2) | instskip(SKIP_1) | instid1(VALU_DEP_4)
	v_bfi_b32 v116, v116, 0, v4
	v_lshrrev_b64 v[4:5], v43, v[4:5]
	v_bfi_b32 v117, v117, 0, 0
	s_delay_alu instid0(VALU_DEP_1) | instskip(NEXT) | instid1(VALU_DEP_3)
	v_cmp_eq_u64_e64 s8, v[116:117], v[46:47]
	v_mov_b64_e32 v[116:117], v[4:5]
	s_and_saveexec_b32 s23, s8
; %bb.163:                              ;   in Loop: Header=BB4_85 Depth=2
	v_bfe_u32 v116, v4, 21, 1
	v_mov_b32_e32 v117, v65
	s_delay_alu instid0(VALU_DEP_1) | instskip(NEXT) | instid1(VALU_DEP_1)
	v_add_nc_u64_e32 v[116:117], v[4:5], v[116:117]
	v_add_nc_u64_e32 v[116:117], -1, v[116:117]
; %bb.164:                              ;   in Loop: Header=BB4_85 Depth=2
	s_or_b32 exec_lo, exec_lo, s23
	v_add_nc_u32_e32 v5, 0xffffff81, v42
	v_lshrrev_b32_e32 v117, 23, v4
	s_mov_b32 s8, exec_lo
	s_delay_alu instid0(VALU_DEP_2) | instskip(NEXT) | instid1(VALU_DEP_1)
	v_cndmask_b32_e64 v5, v5, 0xffffff82, vcc_lo
	v_add3_u32 v117, v43, v5, v117
	v_and_b32_e32 v5, 0x1fffff, v116
                                        ; implicit-def: $vgpr116
	s_delay_alu instid0(VALU_DEP_1) | instskip(SKIP_1) | instid1(VALU_DEP_2)
	v_dual_add_nc_u32 v42, 14, v117 :: v_dual_add_nc_u32 v4, v5, v4
	v_mov_b32_e32 v5, v65
	v_cmpx_ne_u32_e32 0, v42
	s_xor_b32 s8, exec_lo, s8
; %bb.165:                              ;   in Loop: Header=BB4_85 Depth=2
	s_delay_alu instid0(VALU_DEP_2) | instskip(SKIP_2) | instid1(VALU_DEP_2)
	v_cmp_lt_u64_e32 vcc_lo, 0xffffff, v[4:5]
	v_add_nc_u32_e32 v116, 15, v117
	v_cndmask_b32_e64 v117, 0, 1, vcc_lo
	v_cndmask_b32_e32 v116, v42, v116, vcc_lo
	s_delay_alu instid0(VALU_DEP_2)
	v_lshrrev_b64 v[4:5], v117, v[4:5]
; %bb.166:                              ;   in Loop: Header=BB4_85 Depth=2
	s_and_not1_saveexec_b32 s8, s8
; %bb.167:                              ;   in Loop: Header=BB4_85 Depth=2
	s_delay_alu instid0(VALU_DEP_1)
	v_bfe_u32 v116, v4, 23, 1
; %bb.168:                              ;   in Loop: Header=BB4_85 Depth=2
	s_or_b32 exec_lo, exec_lo, s8
	s_delay_alu instid0(VALU_DEP_2) | instskip(NEXT) | instid1(VALU_DEP_2)
	v_lshrrev_b64 v[4:5], 21, v[4:5]
	v_cmp_gt_i32_e32 vcc_lo, 32, v116
	v_min_i32_e32 v117, 31, v116
	v_cmp_eq_u32_e64 s8, 0, v116
	s_delay_alu instid0(VALU_DEP_4) | instskip(NEXT) | instid1(VALU_DEP_3)
	v_cndmask_b32_e32 v5, 0, v5, vcc_lo
	v_dual_cndmask_b32 v4, 3, v4 :: v_dual_lshlrev_b32 v117, 2, v117
	s_delay_alu instid0(VALU_DEP_1) | instskip(NEXT) | instid1(VALU_DEP_2)
	v_and_b32_e32 v117, 0xfc, v117
	v_cmp_eq_u64_e32 vcc_lo, 0, v[4:5]
	s_delay_alu instid0(VALU_DEP_2)
	v_and_or_b32 v4, v4, 3, v117
	s_and_b32 s8, s8, vcc_lo
	s_delay_alu instid0(VALU_DEP_1) | instid1(SALU_CYCLE_1)
	v_cndmask_b32_e64 v4, v4, 0, s8
	s_delay_alu instid0(VALU_DEP_1)
	v_or_b32_e32 v42, v4, v2
.LBB4_169:                              ;   in Loop: Header=BB4_85 Depth=2
	s_or_b32 exec_lo, exec_lo, s22
                                        ; implicit-def: $vgpr2
.LBB4_170:                              ;   in Loop: Header=BB4_85 Depth=2
	s_and_not1_saveexec_b32 s8, s21
; %bb.171:                              ;   in Loop: Header=BB4_85 Depth=2
	v_or_b32_e32 v42, 0x7b, v2
; %bb.172:                              ;   in Loop: Header=BB4_85 Depth=2
	s_or_b32 exec_lo, exec_lo, s8
                                        ; implicit-def: $vgpr116
                                        ; implicit-def: $vgpr4_vgpr5
                                        ; implicit-def: $vgpr2
.LBB4_173:                              ;   in Loop: Header=BB4_85 Depth=2
	s_and_not1_saveexec_b32 s8, s20
	s_cbranch_execz .LBB4_179
; %bb.174:                              ;   in Loop: Header=BB4_85 Depth=2
	s_mov_b32 s20, exec_lo
                                        ; implicit-def: $vgpr42
	v_cmpx_ne_u64_e32 0, v[4:5]
	s_xor_b32 s20, exec_lo, s20
; %bb.175:                              ;   in Loop: Header=BB4_85 Depth=2
	v_or_b32_e32 v42, 0x7f, v2
                                        ; implicit-def: $vgpr116
; %bb.176:                              ;   in Loop: Header=BB4_85 Depth=2
	s_and_not1_saveexec_b32 s20, s20
; %bb.177:                              ;   in Loop: Header=BB4_85 Depth=2
	v_cmp_lt_i32_e32 vcc_lo, -1, v116
	v_cndmask_b32_e32 v42, 0xfc, v59, vcc_lo
; %bb.178:                              ;   in Loop: Header=BB4_85 Depth=2
	s_or_b32 exec_lo, exec_lo, s20
.LBB4_179:                              ;   in Loop: Header=BB4_85 Depth=2
	s_delay_alu instid0(SALU_CYCLE_1)
	s_or_b32 exec_lo, exec_lo, s8
	v_mov_b32_e32 v4, 0
	s_mov_b32 s8, exec_lo
	v_cmpx_lt_u32_e32 0xffffff, v64
	s_cbranch_execz .LBB4_189
; %bb.180:                              ;   in Loop: Header=BB4_85 Depth=2
	v_lshrrev_b32_e32 v2, 24, v64
	v_bfrev_b32_e32 v4, 1
	s_mov_b32 s20, exec_lo
	s_delay_alu instid0(VALU_DEP_2)
	v_cmpx_ne_u32_e32 0x80, v2
	s_cbranch_execz .LBB4_188
; %bb.181:                              ;   in Loop: Header=BB4_85 Depth=2
	v_and_b32_e32 v4, 0x7c000000, v64
	v_bfe_u32 v5, v64, 24, 2
	s_delay_alu instid0(VALU_DEP_2) | instskip(SKIP_1) | instid1(SALU_CYCLE_1)
	v_cmp_ne_u32_e32 vcc_lo, 0x7c000000, v4
                                        ; implicit-def: $vgpr4
	s_and_saveexec_b32 s21, vcc_lo
	s_xor_b32 s21, exec_lo, s21
	s_cbranch_execz .LBB4_185
; %bb.182:                              ;   in Loop: Header=BB4_85 Depth=2
	v_bfe_u32 v4, v64, 26, 5
	s_mov_b32 s22, exec_lo
	s_delay_alu instid0(VALU_DEP_1)
	v_cmpx_eq_u32_e32 0, v4
; %bb.183:                              ;   in Loop: Header=BB4_85 Depth=2
	v_clz_i32_u32_e32 v4, v5
	s_delay_alu instid0(VALU_DEP_1) | instskip(NEXT) | instid1(VALU_DEP_1)
	v_min_u32_e32 v4, 32, v4
	v_subrev_nc_u32_e32 v5, 29, v4
	v_sub_nc_u32_e32 v4, 30, v4
	s_delay_alu instid0(VALU_DEP_2) | instskip(NEXT) | instid1(VALU_DEP_1)
	v_lshlrev_b64_e32 v[116:117], v5, v[2:3]
	v_and_b32_e32 v5, 3, v116
; %bb.184:                              ;   in Loop: Header=BB4_85 Depth=2
	s_or_b32 exec_lo, exec_lo, s22
	v_and_b32_e32 v2, 0x80000000, v64
	s_delay_alu instid0(VALU_DEP_1) | instskip(NEXT) | instid1(VALU_DEP_1)
	v_lshl_add_u32 v2, v4, 23, v2
	v_lshl_or_b32 v2, v5, 21, v2
                                        ; implicit-def: $vgpr5
	s_delay_alu instid0(VALU_DEP_1)
	v_add_nc_u32_e32 v4, 0x38000000, v2
.LBB4_185:                              ;   in Loop: Header=BB4_85 Depth=2
	s_and_not1_saveexec_b32 s21, s21
; %bb.186:                              ;   in Loop: Header=BB4_85 Depth=2
	v_cmp_lt_i32_e32 vcc_lo, -1, v64
	v_cndmask_b32_e32 v2, 0xff800000, v21, vcc_lo
	v_cmp_eq_u32_e32 vcc_lo, 0, v5
	s_delay_alu instid0(VALU_DEP_2)
	v_cndmask_b32_e32 v4, 0x7f800001, v2, vcc_lo
; %bb.187:                              ;   in Loop: Header=BB4_85 Depth=2
	s_or_b32 exec_lo, exec_lo, s21
.LBB4_188:                              ;   in Loop: Header=BB4_85 Depth=2
	s_delay_alu instid0(SALU_CYCLE_1)
	s_or_b32 exec_lo, exec_lo, s20
.LBB4_189:                              ;   in Loop: Header=BB4_85 Depth=2
	s_delay_alu instid0(SALU_CYCLE_1) | instskip(NEXT) | instid1(VALU_DEP_1)
	s_or_b32 exec_lo, exec_lo, s8
	v_dual_mul_f32 v4, v56, v4 :: v_dual_mov_b32 v117, v65
                                        ; implicit-def: $vgpr43
	s_mov_b32 s8, exec_lo
	s_delay_alu instid0(VALU_DEP_1) | instskip(SKIP_2) | instid1(VALU_DEP_3)
	v_and_b32_e32 v116, 0x7f800000, v4
	v_and_b32_e32 v64, 0x7fffff, v4
	v_lshrrev_b32_e32 v2, 24, v4
	v_cmpx_ne_u64_e32 0x7f800000, v[116:117]
	s_xor_b32 s20, exec_lo, s8
	s_cbranch_execz .LBB4_203
; %bb.190:                              ;   in Loop: Header=BB4_85 Depth=2
	v_and_b32_e32 v116, 0x7fffffff, v4
	v_mov_b32_e32 v117, v65
	v_and_b32_e32 v2, 0x80, v2
                                        ; implicit-def: $vgpr43
	s_mov_b32 s8, exec_lo
	s_delay_alu instid0(VALU_DEP_2)
	v_cmpx_gt_u64_e32 0x47600001, v[116:117]
	s_xor_b32 s21, exec_lo, s8
	s_cbranch_execz .LBB4_200
; %bb.191:                              ;   in Loop: Header=BB4_85 Depth=2
	v_mov_b32_e32 v43, 0
	s_mov_b32 s22, exec_lo
	v_cmpx_ne_u32_e32 0, v4
	s_cbranch_execz .LBB4_199
; %bb.192:                              ;   in Loop: Header=BB4_85 Depth=2
	v_bfe_u32 v43, v4, 23, 8
	v_or_b32_e32 v116, 0x800000, v64
	s_delay_alu instid0(VALU_DEP_2) | instskip(SKIP_1) | instid1(VALU_DEP_2)
	v_sub_nc_u32_e32 v4, 0x71, v43
	v_cmp_gt_u32_e32 vcc_lo, 0x72, v43
	v_cndmask_b32_e32 v4, 0, v4, vcc_lo
	v_cmp_eq_u32_e32 vcc_lo, 0, v43
	s_delay_alu instid0(VALU_DEP_2) | instskip(NEXT) | instid1(VALU_DEP_1)
	v_cndmask_b32_e64 v46, v4, 0x70, vcc_lo
	v_dual_cndmask_b32 v64, v116, v64, vcc_lo :: v_dual_add_nc_u32 v4, 21, v46
	v_add_nc_u32_e32 v117, 20, v46
	s_delay_alu instid0(VALU_DEP_2) | instskip(NEXT) | instid1(VALU_DEP_2)
	v_lshlrev_b64_e64 v[4:5], v4, -1
	v_lshlrev_b64_e64 v[116:117], v117, 1
	s_delay_alu instid0(VALU_DEP_2) | instskip(NEXT) | instid1(VALU_DEP_3)
	v_bfi_b32 v63, v5, 0, 0
	v_bfi_b32 v62, v4, 0, v64
	v_lshrrev_b64 v[4:5], v46, v[64:65]
	s_delay_alu instid0(VALU_DEP_2) | instskip(NEXT) | instid1(VALU_DEP_2)
	v_cmp_eq_u64_e64 s8, v[62:63], v[116:117]
	v_mov_b64_e32 v[116:117], v[4:5]
	s_and_saveexec_b32 s23, s8
; %bb.193:                              ;   in Loop: Header=BB4_85 Depth=2
	v_bfe_u32 v64, v4, 21, 1
	s_delay_alu instid0(VALU_DEP_1) | instskip(NEXT) | instid1(VALU_DEP_1)
	v_add_nc_u64_e32 v[116:117], v[4:5], v[64:65]
	v_add_nc_u64_e32 v[116:117], -1, v[116:117]
; %bb.194:                              ;   in Loop: Header=BB4_85 Depth=2
	s_or_b32 exec_lo, exec_lo, s23
	v_add_nc_u32_e32 v5, 0xffffff81, v43
	v_lshrrev_b32_e32 v64, 23, v4
	s_mov_b32 s8, exec_lo
	s_delay_alu instid0(VALU_DEP_2) | instskip(NEXT) | instid1(VALU_DEP_1)
	v_cndmask_b32_e64 v5, v5, 0xffffff82, vcc_lo
	v_add3_u32 v117, v46, v5, v64
	v_and_b32_e32 v5, 0x1fffff, v116
                                        ; implicit-def: $vgpr116
	s_delay_alu instid0(VALU_DEP_1) | instskip(NEXT) | instid1(VALU_DEP_1)
	v_dual_add_nc_u32 v43, 14, v117 :: v_dual_add_nc_u32 v64, v5, v4
                                        ; implicit-def: $vgpr4_vgpr5
	v_cmpx_ne_u32_e32 0, v43
	s_xor_b32 s8, exec_lo, s8
; %bb.195:                              ;   in Loop: Header=BB4_85 Depth=2
	s_delay_alu instid0(VALU_DEP_2) | instskip(SKIP_1) | instid1(VALU_DEP_1)
	v_cmp_lt_u64_e32 vcc_lo, 0xffffff, v[64:65]
	v_add_nc_u32_e32 v4, 15, v117
	v_cndmask_b32_e32 v116, v43, v4, vcc_lo
	v_cndmask_b32_e64 v4, 0, 1, vcc_lo
	s_delay_alu instid0(VALU_DEP_1)
	v_lshrrev_b64 v[4:5], v4, v[64:65]
; %bb.196:                              ;   in Loop: Header=BB4_85 Depth=2
	s_and_not1_saveexec_b32 s8, s8
; %bb.197:                              ;   in Loop: Header=BB4_85 Depth=2
	v_mov_b64_e32 v[4:5], v[64:65]
	v_bfe_u32 v116, v64, 23, 1
; %bb.198:                              ;   in Loop: Header=BB4_85 Depth=2
	s_or_b32 exec_lo, exec_lo, s8
	s_delay_alu instid0(VALU_DEP_2) | instskip(NEXT) | instid1(VALU_DEP_2)
	v_lshrrev_b64 v[4:5], 21, v[4:5]
	v_cmp_gt_i32_e32 vcc_lo, 32, v116
	v_min_i32_e32 v64, 31, v116
	v_cmp_eq_u32_e64 s8, 0, v116
	s_delay_alu instid0(VALU_DEP_2) | instskip(SKIP_1) | instid1(VALU_DEP_2)
	v_dual_cndmask_b32 v5, 0, v5 :: v_dual_lshlrev_b32 v64, 2, v64
	v_cndmask_b32_e32 v4, 3, v4, vcc_lo
	v_and_b32_e32 v64, 0xfc, v64
	s_delay_alu instid0(VALU_DEP_2) | instskip(NEXT) | instid1(VALU_DEP_2)
	v_cmp_eq_u64_e32 vcc_lo, 0, v[4:5]
	v_and_or_b32 v4, v4, 3, v64
	s_and_b32 s8, s8, vcc_lo
	s_delay_alu instid0(VALU_DEP_1) | instid1(SALU_CYCLE_1)
	v_cndmask_b32_e64 v4, v4, 0, s8
	s_delay_alu instid0(VALU_DEP_1)
	v_or_b32_e32 v43, v4, v2
.LBB4_199:                              ;   in Loop: Header=BB4_85 Depth=2
	s_or_b32 exec_lo, exec_lo, s22
                                        ; implicit-def: $vgpr2
.LBB4_200:                              ;   in Loop: Header=BB4_85 Depth=2
	s_and_not1_saveexec_b32 s8, s21
; %bb.201:                              ;   in Loop: Header=BB4_85 Depth=2
	v_or_b32_e32 v43, 0x7b, v2
; %bb.202:                              ;   in Loop: Header=BB4_85 Depth=2
	s_or_b32 exec_lo, exec_lo, s8
                                        ; implicit-def: $vgpr4
                                        ; implicit-def: $vgpr2
.LBB4_203:                              ;   in Loop: Header=BB4_85 Depth=2
	s_and_not1_saveexec_b32 s8, s20
	s_cbranch_execz .LBB4_209
; %bb.204:                              ;   in Loop: Header=BB4_85 Depth=2
	s_mov_b32 s20, exec_lo
                                        ; implicit-def: $vgpr43
	v_cmpx_ne_u64_e32 0, v[64:65]
	s_xor_b32 s20, exec_lo, s20
; %bb.205:                              ;   in Loop: Header=BB4_85 Depth=2
	v_or_b32_e32 v43, 0x7f, v2
                                        ; implicit-def: $vgpr4
; %bb.206:                              ;   in Loop: Header=BB4_85 Depth=2
	s_and_not1_saveexec_b32 s20, s20
; %bb.207:                              ;   in Loop: Header=BB4_85 Depth=2
	v_cmp_lt_i32_e32 vcc_lo, -1, v4
	v_cndmask_b32_e32 v43, 0xfc, v59, vcc_lo
; %bb.208:                              ;   in Loop: Header=BB4_85 Depth=2
	s_or_b32 exec_lo, exec_lo, s20
.LBB4_209:                              ;   in Loop: Header=BB4_85 Depth=2
	s_delay_alu instid0(SALU_CYCLE_1) | instskip(SKIP_1) | instid1(VALU_DEP_1)
	s_or_b32 exec_lo, exec_lo, s8
	v_alignbit_b32 v64, v44, v45, v118
	v_and_b32_e32 v2, 0xff, v64
	s_delay_alu instid0(VALU_DEP_1)
	v_cmp_ne_u16_e32 vcc_lo, 0, v2
	v_mov_b32_e32 v2, 0
	s_and_saveexec_b32 s8, vcc_lo
	s_cbranch_execz .LBB4_219
; %bb.210:                              ;   in Loop: Header=BB4_85 Depth=2
	v_bfe_i32 v5, v64, 0, 8
	v_bfrev_b32_e32 v2, 1
	s_mov_b32 s20, exec_lo
	s_delay_alu instid0(VALU_DEP_2)
	v_cmpx_ne_u16_e32 0xff80, v5
	s_cbranch_execz .LBB4_218
; %bb.211:                              ;   in Loop: Header=BB4_85 Depth=2
	v_and_b32_e32 v2, 0x7c, v64
	v_and_b32_e32 v4, 3, v64
	s_delay_alu instid0(VALU_DEP_2) | instskip(SKIP_1) | instid1(SALU_CYCLE_1)
	v_cmp_ne_u32_e32 vcc_lo, 0x7c, v2
                                        ; implicit-def: $vgpr2
	s_and_saveexec_b32 s21, vcc_lo
	s_xor_b32 s21, exec_lo, s21
	s_cbranch_execz .LBB4_215
; %bb.212:                              ;   in Loop: Header=BB4_85 Depth=2
	v_bfe_u32 v2, v64, 2, 5
	s_mov_b32 s22, exec_lo
	s_delay_alu instid0(VALU_DEP_1)
	v_cmpx_eq_u32_e32 0, v2
; %bb.213:                              ;   in Loop: Header=BB4_85 Depth=2
	v_clz_i32_u32_e32 v2, v4
	s_delay_alu instid0(VALU_DEP_1) | instskip(NEXT) | instid1(VALU_DEP_1)
	v_min_u32_e32 v2, 32, v2
	v_subrev_nc_u32_e32 v4, 29, v2
	s_delay_alu instid0(VALU_DEP_1) | instskip(NEXT) | instid1(VALU_DEP_1)
	v_lshlrev_b64_e32 v[4:5], v4, v[64:65]
	v_dual_sub_nc_u32 v2, 30, v2 :: v_dual_bitop2_b32 v4, 3, v4 bitop3:0x40
; %bb.214:                              ;   in Loop: Header=BB4_85 Depth=2
	s_or_b32 exec_lo, exec_lo, s22
	v_lshlrev_b32_e32 v5, 24, v64
	s_delay_alu instid0(VALU_DEP_1) | instskip(NEXT) | instid1(VALU_DEP_1)
	v_and_b32_e32 v5, 0x80000000, v5
	v_lshl_add_u32 v2, v2, 23, v5
                                        ; implicit-def: $vgpr5
	s_delay_alu instid0(VALU_DEP_1) | instskip(NEXT) | instid1(VALU_DEP_1)
	v_lshl_or_b32 v2, v4, 21, v2
                                        ; implicit-def: $vgpr4
	v_add_nc_u32_e32 v2, 0x38000000, v2
.LBB4_215:                              ;   in Loop: Header=BB4_85 Depth=2
	s_and_not1_saveexec_b32 s21, s21
; %bb.216:                              ;   in Loop: Header=BB4_85 Depth=2
	v_cmp_lt_i16_e32 vcc_lo, -1, v5
	v_cndmask_b32_e32 v2, 0xff800000, v21, vcc_lo
	v_cmp_eq_u32_e32 vcc_lo, 0, v4
	s_delay_alu instid0(VALU_DEP_2)
	v_cndmask_b32_e32 v2, 0x7f800001, v2, vcc_lo
; %bb.217:                              ;   in Loop: Header=BB4_85 Depth=2
	s_or_b32 exec_lo, exec_lo, s21
.LBB4_218:                              ;   in Loop: Header=BB4_85 Depth=2
	s_delay_alu instid0(SALU_CYCLE_1)
	s_or_b32 exec_lo, exec_lo, s20
.LBB4_219:                              ;   in Loop: Header=BB4_85 Depth=2
	s_delay_alu instid0(SALU_CYCLE_1) | instskip(NEXT) | instid1(VALU_DEP_1)
	s_or_b32 exec_lo, exec_lo, s8
	v_dual_mul_f32 v116, v56, v2 :: v_dual_mov_b32 v45, v65
	s_delay_alu instid0(VALU_DEP_1) | instskip(SKIP_2) | instid1(VALU_DEP_2)
	v_dual_mov_b32 v5, v65 :: v_dual_lshrrev_b32 v2, 24, v116
	v_and_b32_e32 v44, 0x7f800000, v116
	v_and_b32_e32 v4, 0x7fffff, v116
	v_cmp_ne_u64_e32 vcc_lo, 0x7f800000, v[44:45]
                                        ; implicit-def: $vgpr44
	s_and_saveexec_b32 s8, vcc_lo
	s_delay_alu instid0(SALU_CYCLE_1)
	s_xor_b32 s20, exec_lo, s8
	s_cbranch_execz .LBB4_233
; %bb.220:                              ;   in Loop: Header=BB4_85 Depth=2
	v_and_b32_e32 v44, 0x7fffffff, v116
	v_mov_b32_e32 v45, v65
	v_and_b32_e32 v2, 0x80, v2
	s_delay_alu instid0(VALU_DEP_2) | instskip(SKIP_1) | instid1(SALU_CYCLE_1)
	v_cmp_gt_u64_e32 vcc_lo, 0x47600001, v[44:45]
                                        ; implicit-def: $vgpr44
	s_and_saveexec_b32 s8, vcc_lo
	s_xor_b32 s21, exec_lo, s8
	s_cbranch_execz .LBB4_230
; %bb.221:                              ;   in Loop: Header=BB4_85 Depth=2
	v_mov_b32_e32 v44, 0
	s_mov_b32 s22, exec_lo
	v_cmpx_ne_u32_e32 0, v116
	s_cbranch_execz .LBB4_229
; %bb.222:                              ;   in Loop: Header=BB4_85 Depth=2
	v_bfe_u32 v44, v116, 23, 8
	v_or_b32_e32 v46, 0x800000, v4
	s_delay_alu instid0(VALU_DEP_2) | instskip(SKIP_1) | instid1(VALU_DEP_2)
	v_sub_nc_u32_e32 v116, 0x71, v44
	v_cmp_gt_u32_e32 vcc_lo, 0x72, v44
	v_cndmask_b32_e32 v116, 0, v116, vcc_lo
	v_cmp_eq_u32_e32 vcc_lo, 0, v44
	s_delay_alu instid0(VALU_DEP_2) | instskip(NEXT) | instid1(VALU_DEP_1)
	v_cndmask_b32_e64 v45, v116, 0x70, vcc_lo
	v_dual_cndmask_b32 v4, v46, v4, vcc_lo :: v_dual_add_nc_u32 v116, 21, v45
	v_add_nc_u32_e32 v47, 20, v45
	s_delay_alu instid0(VALU_DEP_2) | instskip(NEXT) | instid1(VALU_DEP_2)
	v_lshlrev_b64_e64 v[116:117], v116, -1
	v_lshlrev_b64_e64 v[46:47], v47, 1
	s_delay_alu instid0(VALU_DEP_2) | instskip(SKIP_1) | instid1(VALU_DEP_4)
	v_bfi_b32 v116, v116, 0, v4
	v_lshrrev_b64 v[4:5], v45, v[4:5]
	v_bfi_b32 v117, v117, 0, 0
	s_delay_alu instid0(VALU_DEP_1) | instskip(NEXT) | instid1(VALU_DEP_3)
	v_cmp_eq_u64_e64 s8, v[116:117], v[46:47]
	v_mov_b64_e32 v[116:117], v[4:5]
	s_and_saveexec_b32 s23, s8
; %bb.223:                              ;   in Loop: Header=BB4_85 Depth=2
	v_bfe_u32 v116, v4, 21, 1
	v_mov_b32_e32 v117, v65
	s_delay_alu instid0(VALU_DEP_1) | instskip(NEXT) | instid1(VALU_DEP_1)
	v_add_nc_u64_e32 v[116:117], v[4:5], v[116:117]
	v_add_nc_u64_e32 v[116:117], -1, v[116:117]
; %bb.224:                              ;   in Loop: Header=BB4_85 Depth=2
	s_or_b32 exec_lo, exec_lo, s23
	v_add_nc_u32_e32 v5, 0xffffff81, v44
	v_lshrrev_b32_e32 v117, 23, v4
	s_mov_b32 s8, exec_lo
	s_delay_alu instid0(VALU_DEP_2) | instskip(NEXT) | instid1(VALU_DEP_1)
	v_cndmask_b32_e64 v5, v5, 0xffffff82, vcc_lo
	v_add3_u32 v117, v45, v5, v117
	v_and_b32_e32 v5, 0x1fffff, v116
                                        ; implicit-def: $vgpr116
	s_delay_alu instid0(VALU_DEP_1) | instskip(SKIP_1) | instid1(VALU_DEP_2)
	v_dual_add_nc_u32 v44, 14, v117 :: v_dual_add_nc_u32 v4, v5, v4
	v_mov_b32_e32 v5, v65
	v_cmpx_ne_u32_e32 0, v44
	s_xor_b32 s8, exec_lo, s8
; %bb.225:                              ;   in Loop: Header=BB4_85 Depth=2
	s_delay_alu instid0(VALU_DEP_2) | instskip(SKIP_2) | instid1(VALU_DEP_2)
	v_cmp_lt_u64_e32 vcc_lo, 0xffffff, v[4:5]
	v_add_nc_u32_e32 v116, 15, v117
	v_cndmask_b32_e64 v117, 0, 1, vcc_lo
	v_cndmask_b32_e32 v116, v44, v116, vcc_lo
	s_delay_alu instid0(VALU_DEP_2)
	v_lshrrev_b64 v[4:5], v117, v[4:5]
; %bb.226:                              ;   in Loop: Header=BB4_85 Depth=2
	s_and_not1_saveexec_b32 s8, s8
; %bb.227:                              ;   in Loop: Header=BB4_85 Depth=2
	s_delay_alu instid0(VALU_DEP_1)
	v_bfe_u32 v116, v4, 23, 1
; %bb.228:                              ;   in Loop: Header=BB4_85 Depth=2
	s_or_b32 exec_lo, exec_lo, s8
	s_delay_alu instid0(VALU_DEP_2) | instskip(NEXT) | instid1(VALU_DEP_2)
	v_lshrrev_b64 v[4:5], 21, v[4:5]
	v_cmp_gt_i32_e32 vcc_lo, 32, v116
	v_min_i32_e32 v117, 31, v116
	v_cmp_eq_u32_e64 s8, 0, v116
	s_delay_alu instid0(VALU_DEP_4) | instskip(NEXT) | instid1(VALU_DEP_3)
	v_cndmask_b32_e32 v5, 0, v5, vcc_lo
	v_dual_cndmask_b32 v4, 3, v4 :: v_dual_lshlrev_b32 v117, 2, v117
	s_delay_alu instid0(VALU_DEP_1) | instskip(NEXT) | instid1(VALU_DEP_2)
	v_and_b32_e32 v117, 0xfc, v117
	v_cmp_eq_u64_e32 vcc_lo, 0, v[4:5]
	s_delay_alu instid0(VALU_DEP_2)
	v_and_or_b32 v4, v4, 3, v117
	s_and_b32 s8, s8, vcc_lo
	s_delay_alu instid0(VALU_DEP_1) | instid1(SALU_CYCLE_1)
	v_cndmask_b32_e64 v4, v4, 0, s8
	s_delay_alu instid0(VALU_DEP_1)
	v_or_b32_e32 v44, v4, v2
.LBB4_229:                              ;   in Loop: Header=BB4_85 Depth=2
	s_or_b32 exec_lo, exec_lo, s22
                                        ; implicit-def: $vgpr2
.LBB4_230:                              ;   in Loop: Header=BB4_85 Depth=2
	s_and_not1_saveexec_b32 s8, s21
; %bb.231:                              ;   in Loop: Header=BB4_85 Depth=2
	v_or_b32_e32 v44, 0x7b, v2
; %bb.232:                              ;   in Loop: Header=BB4_85 Depth=2
	s_or_b32 exec_lo, exec_lo, s8
                                        ; implicit-def: $vgpr116
                                        ; implicit-def: $vgpr4_vgpr5
                                        ; implicit-def: $vgpr2
.LBB4_233:                              ;   in Loop: Header=BB4_85 Depth=2
	s_and_not1_saveexec_b32 s8, s20
	s_cbranch_execz .LBB4_239
; %bb.234:                              ;   in Loop: Header=BB4_85 Depth=2
	s_mov_b32 s20, exec_lo
                                        ; implicit-def: $vgpr44
	v_cmpx_ne_u64_e32 0, v[4:5]
	s_xor_b32 s20, exec_lo, s20
; %bb.235:                              ;   in Loop: Header=BB4_85 Depth=2
	v_or_b32_e32 v44, 0x7f, v2
                                        ; implicit-def: $vgpr116
; %bb.236:                              ;   in Loop: Header=BB4_85 Depth=2
	s_and_not1_saveexec_b32 s20, s20
; %bb.237:                              ;   in Loop: Header=BB4_85 Depth=2
	v_cmp_lt_i32_e32 vcc_lo, -1, v116
	v_cndmask_b32_e32 v44, 0xfc, v59, vcc_lo
; %bb.238:                              ;   in Loop: Header=BB4_85 Depth=2
	s_or_b32 exec_lo, exec_lo, s20
.LBB4_239:                              ;   in Loop: Header=BB4_85 Depth=2
	s_delay_alu instid0(SALU_CYCLE_1) | instskip(SKIP_3) | instid1(VALU_DEP_2)
	s_or_b32 exec_lo, exec_lo, s8
	v_lshrrev_b16 v4, 8, v64
	v_mov_b32_e32 v5, 0
	s_mov_b32 s8, exec_lo
	v_cmpx_ne_u16_e32 0, v4
	s_cbranch_execz .LBB4_249
; %bb.240:                              ;   in Loop: Header=BB4_85 Depth=2
	v_bfrev_b32_e32 v5, 1
	s_mov_b32 s20, exec_lo
	v_cmpx_ne_u16_e32 0x80, v4
	s_cbranch_execz .LBB4_248
; %bb.241:                              ;   in Loop: Header=BB4_85 Depth=2
	v_and_b32_e32 v116, 0xffff, v4
	s_delay_alu instid0(VALU_DEP_1) | instskip(SKIP_1) | instid1(VALU_DEP_2)
	v_and_b32_e32 v5, 0x7c, v116
	v_and_b32_e32 v2, 3, v116
	v_cmp_ne_u32_e32 vcc_lo, 0x7c, v5
                                        ; implicit-def: $vgpr5
	s_and_saveexec_b32 s21, vcc_lo
	s_delay_alu instid0(SALU_CYCLE_1)
	s_xor_b32 s21, exec_lo, s21
	s_cbranch_execz .LBB4_245
; %bb.242:                              ;   in Loop: Header=BB4_85 Depth=2
	v_bfe_u32 v5, v116, 2, 5
	s_mov_b32 s22, exec_lo
	s_delay_alu instid0(VALU_DEP_1)
	v_cmpx_eq_u32_e32 0, v5
; %bb.243:                              ;   in Loop: Header=BB4_85 Depth=2
	v_clz_i32_u32_e32 v2, v2
	v_mov_b32_e32 v5, v65
	s_delay_alu instid0(VALU_DEP_2) | instskip(NEXT) | instid1(VALU_DEP_1)
	v_min_u32_e32 v2, 32, v2
	v_subrev_nc_u32_e32 v116, 29, v2
	s_delay_alu instid0(VALU_DEP_1) | instskip(NEXT) | instid1(VALU_DEP_1)
	v_lshlrev_b64_e32 v[4:5], v116, v[4:5]
	v_dual_sub_nc_u32 v5, 30, v2 :: v_dual_bitop2_b32 v2, 3, v4 bitop3:0x40
; %bb.244:                              ;   in Loop: Header=BB4_85 Depth=2
	s_or_b32 exec_lo, exec_lo, s22
	v_lshlrev_b32_e32 v4, 16, v64
	s_delay_alu instid0(VALU_DEP_1) | instskip(NEXT) | instid1(VALU_DEP_1)
	v_and_b32_e32 v4, 0x80000000, v4
	v_lshl_add_u32 v4, v5, 23, v4
	s_delay_alu instid0(VALU_DEP_1) | instskip(NEXT) | instid1(VALU_DEP_1)
	v_lshl_or_b32 v2, v2, 21, v4
	v_add_nc_u32_e32 v5, 0x38000000, v2
                                        ; implicit-def: $vgpr2
.LBB4_245:                              ;   in Loop: Header=BB4_85 Depth=2
	s_and_not1_saveexec_b32 s21, s21
; %bb.246:                              ;   in Loop: Header=BB4_85 Depth=2
	v_cmp_lt_i16_e32 vcc_lo, -1, v64
	v_cndmask_b32_e32 v4, 0xff800000, v21, vcc_lo
	v_cmp_eq_u32_e32 vcc_lo, 0, v2
	s_delay_alu instid0(VALU_DEP_2)
	v_cndmask_b32_e32 v5, 0x7f800001, v4, vcc_lo
; %bb.247:                              ;   in Loop: Header=BB4_85 Depth=2
	s_or_b32 exec_lo, exec_lo, s21
.LBB4_248:                              ;   in Loop: Header=BB4_85 Depth=2
	s_delay_alu instid0(SALU_CYCLE_1)
	s_or_b32 exec_lo, exec_lo, s20
.LBB4_249:                              ;   in Loop: Header=BB4_85 Depth=2
	s_delay_alu instid0(SALU_CYCLE_1) | instskip(NEXT) | instid1(VALU_DEP_1)
	s_or_b32 exec_lo, exec_lo, s8
	v_dual_mul_f32 v116, v56, v5 :: v_dual_mov_b32 v47, v65
	v_mov_b32_e32 v5, v65
                                        ; implicit-def: $vgpr45
	s_mov_b32 s8, exec_lo
	s_delay_alu instid0(VALU_DEP_2) | instskip(SKIP_2) | instid1(VALU_DEP_3)
	v_and_b32_e32 v46, 0x7f800000, v116
	v_and_b32_e32 v4, 0x7fffff, v116
	v_lshrrev_b32_e32 v2, 24, v116
	v_cmpx_ne_u64_e32 0x7f800000, v[46:47]
	s_xor_b32 s20, exec_lo, s8
	s_cbranch_execz .LBB4_263
; %bb.250:                              ;   in Loop: Header=BB4_85 Depth=2
	v_and_b32_e32 v46, 0x7fffffff, v116
	v_mov_b32_e32 v47, v65
	v_and_b32_e32 v2, 0x80, v2
                                        ; implicit-def: $vgpr45
	s_mov_b32 s8, exec_lo
	s_delay_alu instid0(VALU_DEP_2)
	v_cmpx_gt_u64_e32 0x47600001, v[46:47]
	s_xor_b32 s21, exec_lo, s8
	s_cbranch_execz .LBB4_260
; %bb.251:                              ;   in Loop: Header=BB4_85 Depth=2
	v_mov_b32_e32 v45, 0
	s_mov_b32 s22, exec_lo
	v_cmpx_ne_u32_e32 0, v116
	s_cbranch_execz .LBB4_259
; %bb.252:                              ;   in Loop: Header=BB4_85 Depth=2
	v_bfe_u32 v45, v116, 23, 8
	v_or_b32_e32 v117, 0x800000, v4
	s_delay_alu instid0(VALU_DEP_2) | instskip(SKIP_2) | instid1(VALU_DEP_2)
	v_cmp_gt_u32_e64 s8, 0x72, v45
	v_sub_nc_u32_e32 v116, 0x71, v45
	v_cmp_eq_u32_e32 vcc_lo, 0, v45
	v_cndmask_b32_e64 v116, 0, v116, s8
	s_delay_alu instid0(VALU_DEP_1) | instskip(NEXT) | instid1(VALU_DEP_1)
	v_cndmask_b32_e64 v46, v116, 0x70, vcc_lo
	v_dual_cndmask_b32 v4, v117, v4, vcc_lo :: v_dual_add_nc_u32 v116, 21, v46
	v_add_nc_u32_e32 v47, 20, v46
	s_delay_alu instid0(VALU_DEP_2) | instskip(NEXT) | instid1(VALU_DEP_2)
	v_lshlrev_b64_e64 v[116:117], v116, -1
	v_lshlrev_b64_e64 v[62:63], v47, 1
	s_delay_alu instid0(VALU_DEP_2) | instskip(SKIP_1) | instid1(VALU_DEP_4)
	v_bfi_b32 v116, v116, 0, v4
	v_lshrrev_b64 v[4:5], v46, v[4:5]
	v_bfi_b32 v117, v117, 0, 0
	s_delay_alu instid0(VALU_DEP_1) | instskip(NEXT) | instid1(VALU_DEP_3)
	v_cmp_eq_u64_e64 s8, v[116:117], v[62:63]
	v_mov_b64_e32 v[116:117], v[4:5]
	s_and_saveexec_b32 s23, s8
; %bb.253:                              ;   in Loop: Header=BB4_85 Depth=2
	v_bfe_u32 v116, v4, 21, 1
	v_mov_b32_e32 v117, v65
	s_delay_alu instid0(VALU_DEP_1) | instskip(NEXT) | instid1(VALU_DEP_1)
	v_add_nc_u64_e32 v[116:117], v[4:5], v[116:117]
	v_add_nc_u64_e32 v[116:117], -1, v[116:117]
; %bb.254:                              ;   in Loop: Header=BB4_85 Depth=2
	s_or_b32 exec_lo, exec_lo, s23
	v_add_nc_u32_e32 v5, 0xffffff81, v45
	v_lshrrev_b32_e32 v117, 23, v4
	s_mov_b32 s8, exec_lo
	s_delay_alu instid0(VALU_DEP_2) | instskip(NEXT) | instid1(VALU_DEP_1)
	v_cndmask_b32_e64 v5, v5, 0xffffff82, vcc_lo
	v_add3_u32 v117, v46, v5, v117
	v_and_b32_e32 v5, 0x1fffff, v116
                                        ; implicit-def: $vgpr116
	s_delay_alu instid0(VALU_DEP_1) | instskip(SKIP_1) | instid1(VALU_DEP_2)
	v_dual_add_nc_u32 v45, 14, v117 :: v_dual_add_nc_u32 v4, v5, v4
	v_mov_b32_e32 v5, v65
	v_cmpx_ne_u32_e32 0, v45
	s_xor_b32 s8, exec_lo, s8
; %bb.255:                              ;   in Loop: Header=BB4_85 Depth=2
	s_delay_alu instid0(VALU_DEP_2) | instskip(SKIP_2) | instid1(VALU_DEP_2)
	v_cmp_lt_u64_e32 vcc_lo, 0xffffff, v[4:5]
	v_add_nc_u32_e32 v116, 15, v117
	v_cndmask_b32_e64 v117, 0, 1, vcc_lo
	v_cndmask_b32_e32 v116, v45, v116, vcc_lo
	s_delay_alu instid0(VALU_DEP_2)
	v_lshrrev_b64 v[4:5], v117, v[4:5]
; %bb.256:                              ;   in Loop: Header=BB4_85 Depth=2
	s_and_not1_saveexec_b32 s8, s8
; %bb.257:                              ;   in Loop: Header=BB4_85 Depth=2
	s_delay_alu instid0(VALU_DEP_1)
	v_bfe_u32 v116, v4, 23, 1
; %bb.258:                              ;   in Loop: Header=BB4_85 Depth=2
	s_or_b32 exec_lo, exec_lo, s8
	s_delay_alu instid0(VALU_DEP_2) | instskip(NEXT) | instid1(VALU_DEP_2)
	v_lshrrev_b64 v[4:5], 21, v[4:5]
	v_cmp_gt_i32_e32 vcc_lo, 32, v116
	v_min_i32_e32 v117, 31, v116
	v_cmp_eq_u32_e64 s8, 0, v116
	s_delay_alu instid0(VALU_DEP_4) | instskip(NEXT) | instid1(VALU_DEP_3)
	v_cndmask_b32_e32 v5, 0, v5, vcc_lo
	v_dual_cndmask_b32 v4, 3, v4 :: v_dual_lshlrev_b32 v117, 2, v117
	s_delay_alu instid0(VALU_DEP_1) | instskip(NEXT) | instid1(VALU_DEP_2)
	v_and_b32_e32 v117, 0xfc, v117
	v_cmp_eq_u64_e32 vcc_lo, 0, v[4:5]
	s_delay_alu instid0(VALU_DEP_2)
	v_and_or_b32 v4, v4, 3, v117
	s_and_b32 s8, s8, vcc_lo
	s_delay_alu instid0(VALU_DEP_1) | instid1(SALU_CYCLE_1)
	v_cndmask_b32_e64 v4, v4, 0, s8
	s_delay_alu instid0(VALU_DEP_1)
	v_or_b32_e32 v45, v4, v2
.LBB4_259:                              ;   in Loop: Header=BB4_85 Depth=2
	s_or_b32 exec_lo, exec_lo, s22
                                        ; implicit-def: $vgpr2
.LBB4_260:                              ;   in Loop: Header=BB4_85 Depth=2
	s_and_not1_saveexec_b32 s8, s21
; %bb.261:                              ;   in Loop: Header=BB4_85 Depth=2
	v_or_b32_e32 v45, 0x7b, v2
; %bb.262:                              ;   in Loop: Header=BB4_85 Depth=2
	s_or_b32 exec_lo, exec_lo, s8
                                        ; implicit-def: $vgpr116
                                        ; implicit-def: $vgpr4_vgpr5
                                        ; implicit-def: $vgpr2
.LBB4_263:                              ;   in Loop: Header=BB4_85 Depth=2
	s_and_not1_saveexec_b32 s8, s20
	s_cbranch_execz .LBB4_269
; %bb.264:                              ;   in Loop: Header=BB4_85 Depth=2
	s_mov_b32 s20, exec_lo
                                        ; implicit-def: $vgpr45
	v_cmpx_ne_u64_e32 0, v[4:5]
	s_xor_b32 s20, exec_lo, s20
; %bb.265:                              ;   in Loop: Header=BB4_85 Depth=2
	v_or_b32_e32 v45, 0x7f, v2
                                        ; implicit-def: $vgpr116
; %bb.266:                              ;   in Loop: Header=BB4_85 Depth=2
	s_and_not1_saveexec_b32 s20, s20
; %bb.267:                              ;   in Loop: Header=BB4_85 Depth=2
	v_cmp_lt_i32_e32 vcc_lo, -1, v116
	v_cndmask_b32_e32 v45, 0xfc, v59, vcc_lo
; %bb.268:                              ;   in Loop: Header=BB4_85 Depth=2
	s_or_b32 exec_lo, exec_lo, s20
.LBB4_269:                              ;   in Loop: Header=BB4_85 Depth=2
	s_delay_alu instid0(SALU_CYCLE_1) | instskip(SKIP_2) | instid1(VALU_DEP_1)
	s_or_b32 exec_lo, exec_lo, s8
	v_dual_lshrrev_b32 v2, 16, v64 :: v_dual_mov_b32 v4, 0
	s_mov_b32 s8, exec_lo
	v_and_b32_e32 v5, 0xff, v2
	s_delay_alu instid0(VALU_DEP_1)
	v_cmpx_ne_u16_e32 0, v5
	s_cbranch_execz .LBB4_279
; %bb.270:                              ;   in Loop: Header=BB4_85 Depth=2
	v_bfrev_b32_e32 v4, 1
	s_mov_b32 s20, exec_lo
	v_cmpx_ne_u16_e32 0x80, v5
	s_cbranch_execz .LBB4_278
; %bb.271:                              ;   in Loop: Header=BB4_85 Depth=2
	v_and_b32_e32 v4, 0x7c0000, v64
	v_bfe_u32 v5, v64, 16, 2
	s_delay_alu instid0(VALU_DEP_2) | instskip(SKIP_1) | instid1(SALU_CYCLE_1)
	v_cmp_ne_u32_e32 vcc_lo, 0x7c0000, v4
                                        ; implicit-def: $vgpr4
	s_and_saveexec_b32 s21, vcc_lo
	s_xor_b32 s21, exec_lo, s21
	s_cbranch_execz .LBB4_275
; %bb.272:                              ;   in Loop: Header=BB4_85 Depth=2
	v_bfe_u32 v4, v64, 18, 5
	s_mov_b32 s22, exec_lo
	s_delay_alu instid0(VALU_DEP_1)
	v_cmpx_eq_u32_e32 0, v4
; %bb.273:                              ;   in Loop: Header=BB4_85 Depth=2
	v_clz_i32_u32_e32 v4, v5
	s_delay_alu instid0(VALU_DEP_1) | instskip(NEXT) | instid1(VALU_DEP_1)
	v_min_u32_e32 v4, 32, v4
	v_subrev_nc_u32_e32 v5, 29, v4
	v_sub_nc_u32_e32 v4, 30, v4
	s_delay_alu instid0(VALU_DEP_2) | instskip(NEXT) | instid1(VALU_DEP_1)
	v_lshlrev_b64_e32 v[116:117], v5, v[2:3]
	v_and_b32_e32 v5, 3, v116
; %bb.274:                              ;   in Loop: Header=BB4_85 Depth=2
	s_or_b32 exec_lo, exec_lo, s22
	v_lshlrev_b32_e32 v2, 24, v2
	s_delay_alu instid0(VALU_DEP_1) | instskip(NEXT) | instid1(VALU_DEP_1)
	v_and_b32_e32 v2, 0x80000000, v2
	v_lshl_add_u32 v2, v4, 23, v2
	s_delay_alu instid0(VALU_DEP_1) | instskip(NEXT) | instid1(VALU_DEP_1)
	v_lshl_or_b32 v2, v5, 21, v2
                                        ; implicit-def: $vgpr5
	v_add_nc_u32_e32 v4, 0x38000000, v2
                                        ; implicit-def: $vgpr2
.LBB4_275:                              ;   in Loop: Header=BB4_85 Depth=2
	s_and_not1_saveexec_b32 s21, s21
; %bb.276:                              ;   in Loop: Header=BB4_85 Depth=2
	v_bfe_i32 v2, v2, 0, 8
	s_delay_alu instid0(VALU_DEP_1) | instskip(SKIP_2) | instid1(VALU_DEP_2)
	v_cmp_lt_i16_e32 vcc_lo, -1, v2
	v_cndmask_b32_e32 v2, 0xff800000, v21, vcc_lo
	v_cmp_eq_u32_e32 vcc_lo, 0, v5
	v_cndmask_b32_e32 v4, 0x7f800001, v2, vcc_lo
; %bb.277:                              ;   in Loop: Header=BB4_85 Depth=2
	s_or_b32 exec_lo, exec_lo, s21
.LBB4_278:                              ;   in Loop: Header=BB4_85 Depth=2
	s_delay_alu instid0(SALU_CYCLE_1)
	s_or_b32 exec_lo, exec_lo, s20
.LBB4_279:                              ;   in Loop: Header=BB4_85 Depth=2
	s_delay_alu instid0(SALU_CYCLE_1) | instskip(NEXT) | instid1(VALU_DEP_1)
	s_or_b32 exec_lo, exec_lo, s8
	v_dual_mul_f32 v116, v56, v4 :: v_dual_mov_b32 v47, v65
	s_delay_alu instid0(VALU_DEP_1) | instskip(SKIP_2) | instid1(VALU_DEP_2)
	v_dual_mov_b32 v5, v65 :: v_dual_lshrrev_b32 v2, 24, v116
	v_and_b32_e32 v46, 0x7f800000, v116
	v_and_b32_e32 v4, 0x7fffff, v116
	v_cmp_ne_u64_e32 vcc_lo, 0x7f800000, v[46:47]
                                        ; implicit-def: $vgpr46
	s_and_saveexec_b32 s8, vcc_lo
	s_delay_alu instid0(SALU_CYCLE_1)
	s_xor_b32 s20, exec_lo, s8
	s_cbranch_execz .LBB4_293
; %bb.280:                              ;   in Loop: Header=BB4_85 Depth=2
	v_and_b32_e32 v46, 0x7fffffff, v116
	v_mov_b32_e32 v47, v65
	v_and_b32_e32 v2, 0x80, v2
	s_delay_alu instid0(VALU_DEP_2) | instskip(SKIP_1) | instid1(SALU_CYCLE_1)
	v_cmp_gt_u64_e32 vcc_lo, 0x47600001, v[46:47]
                                        ; implicit-def: $vgpr46
	s_and_saveexec_b32 s8, vcc_lo
	s_xor_b32 s21, exec_lo, s8
	s_cbranch_execz .LBB4_290
; %bb.281:                              ;   in Loop: Header=BB4_85 Depth=2
	v_mov_b32_e32 v46, 0
	s_mov_b32 s22, exec_lo
	v_cmpx_ne_u32_e32 0, v116
	s_cbranch_execz .LBB4_289
; %bb.282:                              ;   in Loop: Header=BB4_85 Depth=2
	v_bfe_u32 v46, v116, 23, 8
	v_or_b32_e32 v62, 0x800000, v4
	s_delay_alu instid0(VALU_DEP_2) | instskip(SKIP_2) | instid1(VALU_DEP_2)
	v_sub_nc_u32_e32 v116, 0x71, v46
	v_cmp_gt_u32_e64 s8, 0x72, v46
	v_cmp_eq_u32_e32 vcc_lo, 0, v46
	v_cndmask_b32_e64 v116, 0, v116, s8
	v_cndmask_b32_e32 v4, v62, v4, vcc_lo
	s_delay_alu instid0(VALU_DEP_2) | instskip(NEXT) | instid1(VALU_DEP_1)
	v_cndmask_b32_e64 v47, v116, 0x70, vcc_lo
	v_dual_add_nc_u32 v116, 21, v47 :: v_dual_add_nc_u32 v63, 20, v47
	s_delay_alu instid0(VALU_DEP_1) | instskip(NEXT) | instid1(VALU_DEP_2)
	v_lshlrev_b64_e64 v[116:117], v116, -1
	v_lshlrev_b64_e64 v[62:63], v63, 1
	s_delay_alu instid0(VALU_DEP_2) | instskip(SKIP_1) | instid1(VALU_DEP_4)
	v_bfi_b32 v116, v116, 0, v4
	v_lshrrev_b64 v[4:5], v47, v[4:5]
	v_bfi_b32 v117, v117, 0, 0
	s_delay_alu instid0(VALU_DEP_1) | instskip(NEXT) | instid1(VALU_DEP_3)
	v_cmp_eq_u64_e64 s8, v[116:117], v[62:63]
	v_mov_b64_e32 v[116:117], v[4:5]
	s_and_saveexec_b32 s23, s8
; %bb.283:                              ;   in Loop: Header=BB4_85 Depth=2
	v_bfe_u32 v116, v4, 21, 1
	v_mov_b32_e32 v117, v65
	s_delay_alu instid0(VALU_DEP_1) | instskip(NEXT) | instid1(VALU_DEP_1)
	v_add_nc_u64_e32 v[116:117], v[4:5], v[116:117]
	v_add_nc_u64_e32 v[116:117], -1, v[116:117]
; %bb.284:                              ;   in Loop: Header=BB4_85 Depth=2
	s_or_b32 exec_lo, exec_lo, s23
	v_add_nc_u32_e32 v5, 0xffffff81, v46
	v_lshrrev_b32_e32 v117, 23, v4
	s_mov_b32 s8, exec_lo
	s_delay_alu instid0(VALU_DEP_2) | instskip(NEXT) | instid1(VALU_DEP_1)
	v_cndmask_b32_e64 v5, v5, 0xffffff82, vcc_lo
	v_add3_u32 v117, v47, v5, v117
	v_and_b32_e32 v5, 0x1fffff, v116
                                        ; implicit-def: $vgpr116
	s_delay_alu instid0(VALU_DEP_1) | instskip(SKIP_1) | instid1(VALU_DEP_2)
	v_dual_add_nc_u32 v46, 14, v117 :: v_dual_add_nc_u32 v4, v5, v4
	v_mov_b32_e32 v5, v65
	v_cmpx_ne_u32_e32 0, v46
	s_xor_b32 s8, exec_lo, s8
; %bb.285:                              ;   in Loop: Header=BB4_85 Depth=2
	s_delay_alu instid0(VALU_DEP_2) | instskip(SKIP_2) | instid1(VALU_DEP_2)
	v_cmp_lt_u64_e32 vcc_lo, 0xffffff, v[4:5]
	v_add_nc_u32_e32 v116, 15, v117
	v_cndmask_b32_e64 v117, 0, 1, vcc_lo
	v_cndmask_b32_e32 v116, v46, v116, vcc_lo
	s_delay_alu instid0(VALU_DEP_2)
	v_lshrrev_b64 v[4:5], v117, v[4:5]
; %bb.286:                              ;   in Loop: Header=BB4_85 Depth=2
	s_and_not1_saveexec_b32 s8, s8
; %bb.287:                              ;   in Loop: Header=BB4_85 Depth=2
	s_delay_alu instid0(VALU_DEP_1)
	v_bfe_u32 v116, v4, 23, 1
; %bb.288:                              ;   in Loop: Header=BB4_85 Depth=2
	s_or_b32 exec_lo, exec_lo, s8
	s_delay_alu instid0(VALU_DEP_2) | instskip(NEXT) | instid1(VALU_DEP_2)
	v_lshrrev_b64 v[4:5], 21, v[4:5]
	v_cmp_gt_i32_e32 vcc_lo, 32, v116
	v_min_i32_e32 v117, 31, v116
	v_cmp_eq_u32_e64 s8, 0, v116
	s_delay_alu instid0(VALU_DEP_4) | instskip(NEXT) | instid1(VALU_DEP_3)
	v_cndmask_b32_e32 v5, 0, v5, vcc_lo
	v_dual_cndmask_b32 v4, 3, v4 :: v_dual_lshlrev_b32 v117, 2, v117
	s_delay_alu instid0(VALU_DEP_1) | instskip(NEXT) | instid1(VALU_DEP_2)
	v_and_b32_e32 v117, 0xfc, v117
	v_cmp_eq_u64_e32 vcc_lo, 0, v[4:5]
	s_delay_alu instid0(VALU_DEP_2)
	v_and_or_b32 v4, v4, 3, v117
	s_and_b32 s8, s8, vcc_lo
	s_delay_alu instid0(VALU_DEP_1) | instid1(SALU_CYCLE_1)
	v_cndmask_b32_e64 v4, v4, 0, s8
	s_delay_alu instid0(VALU_DEP_1)
	v_or_b32_e32 v46, v4, v2
.LBB4_289:                              ;   in Loop: Header=BB4_85 Depth=2
	s_or_b32 exec_lo, exec_lo, s22
                                        ; implicit-def: $vgpr2
.LBB4_290:                              ;   in Loop: Header=BB4_85 Depth=2
	s_and_not1_saveexec_b32 s8, s21
; %bb.291:                              ;   in Loop: Header=BB4_85 Depth=2
	v_or_b32_e32 v46, 0x7b, v2
; %bb.292:                              ;   in Loop: Header=BB4_85 Depth=2
	s_or_b32 exec_lo, exec_lo, s8
                                        ; implicit-def: $vgpr116
                                        ; implicit-def: $vgpr4_vgpr5
                                        ; implicit-def: $vgpr2
.LBB4_293:                              ;   in Loop: Header=BB4_85 Depth=2
	s_and_not1_saveexec_b32 s8, s20
	s_cbranch_execz .LBB4_299
; %bb.294:                              ;   in Loop: Header=BB4_85 Depth=2
	s_mov_b32 s20, exec_lo
                                        ; implicit-def: $vgpr46
	v_cmpx_ne_u64_e32 0, v[4:5]
	s_xor_b32 s20, exec_lo, s20
; %bb.295:                              ;   in Loop: Header=BB4_85 Depth=2
	v_or_b32_e32 v46, 0x7f, v2
                                        ; implicit-def: $vgpr116
; %bb.296:                              ;   in Loop: Header=BB4_85 Depth=2
	s_and_not1_saveexec_b32 s20, s20
; %bb.297:                              ;   in Loop: Header=BB4_85 Depth=2
	v_cmp_lt_i32_e32 vcc_lo, -1, v116
	v_cndmask_b32_e32 v46, 0xfc, v59, vcc_lo
; %bb.298:                              ;   in Loop: Header=BB4_85 Depth=2
	s_or_b32 exec_lo, exec_lo, s20
.LBB4_299:                              ;   in Loop: Header=BB4_85 Depth=2
	s_delay_alu instid0(SALU_CYCLE_1)
	s_or_b32 exec_lo, exec_lo, s8
	v_mov_b32_e32 v4, 0
	s_mov_b32 s8, exec_lo
	v_cmpx_lt_u32_e32 0xffffff, v64
	s_cbranch_execz .LBB4_309
; %bb.300:                              ;   in Loop: Header=BB4_85 Depth=2
	v_lshrrev_b32_e32 v2, 24, v64
	v_bfrev_b32_e32 v4, 1
	s_mov_b32 s20, exec_lo
	s_delay_alu instid0(VALU_DEP_2)
	v_cmpx_ne_u32_e32 0x80, v2
	s_cbranch_execz .LBB4_308
; %bb.301:                              ;   in Loop: Header=BB4_85 Depth=2
	v_and_b32_e32 v4, 0x7c000000, v64
	v_bfe_u32 v5, v64, 24, 2
	s_delay_alu instid0(VALU_DEP_2) | instskip(SKIP_1) | instid1(SALU_CYCLE_1)
	v_cmp_ne_u32_e32 vcc_lo, 0x7c000000, v4
                                        ; implicit-def: $vgpr4
	s_and_saveexec_b32 s21, vcc_lo
	s_xor_b32 s21, exec_lo, s21
	s_cbranch_execz .LBB4_305
; %bb.302:                              ;   in Loop: Header=BB4_85 Depth=2
	v_bfe_u32 v4, v64, 26, 5
	s_mov_b32 s22, exec_lo
	s_delay_alu instid0(VALU_DEP_1)
	v_cmpx_eq_u32_e32 0, v4
; %bb.303:                              ;   in Loop: Header=BB4_85 Depth=2
	v_clz_i32_u32_e32 v4, v5
	s_delay_alu instid0(VALU_DEP_1) | instskip(NEXT) | instid1(VALU_DEP_1)
	v_min_u32_e32 v4, 32, v4
	v_subrev_nc_u32_e32 v5, 29, v4
	v_sub_nc_u32_e32 v4, 30, v4
	s_delay_alu instid0(VALU_DEP_2) | instskip(NEXT) | instid1(VALU_DEP_1)
	v_lshlrev_b64_e32 v[116:117], v5, v[2:3]
	v_and_b32_e32 v5, 3, v116
; %bb.304:                              ;   in Loop: Header=BB4_85 Depth=2
	s_or_b32 exec_lo, exec_lo, s22
	v_and_b32_e32 v2, 0x80000000, v64
	s_delay_alu instid0(VALU_DEP_1) | instskip(NEXT) | instid1(VALU_DEP_1)
	v_lshl_add_u32 v2, v4, 23, v2
	v_lshl_or_b32 v2, v5, 21, v2
                                        ; implicit-def: $vgpr5
	s_delay_alu instid0(VALU_DEP_1)
	v_add_nc_u32_e32 v4, 0x38000000, v2
.LBB4_305:                              ;   in Loop: Header=BB4_85 Depth=2
	s_and_not1_saveexec_b32 s21, s21
; %bb.306:                              ;   in Loop: Header=BB4_85 Depth=2
	v_cmp_lt_i32_e32 vcc_lo, -1, v64
	v_cndmask_b32_e32 v2, 0xff800000, v21, vcc_lo
	v_cmp_eq_u32_e32 vcc_lo, 0, v5
	s_delay_alu instid0(VALU_DEP_2)
	v_cndmask_b32_e32 v4, 0x7f800001, v2, vcc_lo
; %bb.307:                              ;   in Loop: Header=BB4_85 Depth=2
	s_or_b32 exec_lo, exec_lo, s21
.LBB4_308:                              ;   in Loop: Header=BB4_85 Depth=2
	s_delay_alu instid0(SALU_CYCLE_1)
	s_or_b32 exec_lo, exec_lo, s20
.LBB4_309:                              ;   in Loop: Header=BB4_85 Depth=2
	s_delay_alu instid0(SALU_CYCLE_1) | instskip(NEXT) | instid1(VALU_DEP_1)
	s_or_b32 exec_lo, exec_lo, s8
	v_dual_mul_f32 v5, v56, v4 :: v_dual_mov_b32 v117, v65
                                        ; implicit-def: $vgpr4
	s_mov_b32 s8, exec_lo
	s_delay_alu instid0(VALU_DEP_1) | instskip(SKIP_2) | instid1(VALU_DEP_3)
	v_and_b32_e32 v116, 0x7f800000, v5
	v_and_b32_e32 v64, 0x7fffff, v5
	v_lshrrev_b32_e32 v2, 24, v5
	v_cmpx_ne_u64_e32 0x7f800000, v[116:117]
	s_xor_b32 s20, exec_lo, s8
	s_cbranch_execz .LBB4_323
; %bb.310:                              ;   in Loop: Header=BB4_85 Depth=2
	v_and_b32_e32 v116, 0x7fffffff, v5
	v_mov_b32_e32 v117, v65
	v_and_b32_e32 v2, 0x80, v2
                                        ; implicit-def: $vgpr4
	s_mov_b32 s8, exec_lo
	s_delay_alu instid0(VALU_DEP_2)
	v_cmpx_gt_u64_e32 0x47600001, v[116:117]
	s_xor_b32 s21, exec_lo, s8
	s_cbranch_execz .LBB4_320
; %bb.311:                              ;   in Loop: Header=BB4_85 Depth=2
	v_mov_b32_e32 v4, 0
	s_mov_b32 s22, exec_lo
	v_cmpx_ne_u32_e32 0, v5
	s_cbranch_execz .LBB4_319
; %bb.312:                              ;   in Loop: Header=BB4_85 Depth=2
	v_bfe_u32 v47, v5, 23, 8
	v_or_b32_e32 v116, 0x800000, v64
	s_delay_alu instid0(VALU_DEP_2) | instskip(SKIP_1) | instid1(VALU_DEP_2)
	v_sub_nc_u32_e32 v4, 0x71, v47
	v_cmp_gt_u32_e32 vcc_lo, 0x72, v47
	v_cndmask_b32_e32 v4, 0, v4, vcc_lo
	v_cmp_eq_u32_e32 vcc_lo, 0, v47
	s_delay_alu instid0(VALU_DEP_2) | instskip(NEXT) | instid1(VALU_DEP_1)
	v_cndmask_b32_e64 v62, v4, 0x70, vcc_lo
	v_dual_cndmask_b32 v64, v116, v64, vcc_lo :: v_dual_add_nc_u32 v4, 21, v62
	v_add_nc_u32_e32 v117, 20, v62
	s_delay_alu instid0(VALU_DEP_2) | instskip(NEXT) | instid1(VALU_DEP_2)
	v_lshlrev_b64_e64 v[4:5], v4, -1
	v_lshlrev_b64_e64 v[116:117], v117, 1
	s_delay_alu instid0(VALU_DEP_2) | instskip(NEXT) | instid1(VALU_DEP_3)
	v_bfi_b32 v73, v5, 0, 0
	v_bfi_b32 v72, v4, 0, v64
	v_lshrrev_b64 v[4:5], v62, v[64:65]
	s_delay_alu instid0(VALU_DEP_2) | instskip(NEXT) | instid1(VALU_DEP_2)
	v_cmp_eq_u64_e64 s8, v[72:73], v[116:117]
	v_mov_b64_e32 v[116:117], v[4:5]
	s_and_saveexec_b32 s23, s8
; %bb.313:                              ;   in Loop: Header=BB4_85 Depth=2
	v_bfe_u32 v64, v4, 21, 1
	s_delay_alu instid0(VALU_DEP_1) | instskip(NEXT) | instid1(VALU_DEP_1)
	v_add_nc_u64_e32 v[116:117], v[4:5], v[64:65]
	v_add_nc_u64_e32 v[116:117], -1, v[116:117]
; %bb.314:                              ;   in Loop: Header=BB4_85 Depth=2
	s_or_b32 exec_lo, exec_lo, s23
	v_add_nc_u32_e32 v5, 0xffffff81, v47
	v_lshrrev_b32_e32 v64, 23, v4
	s_mov_b32 s8, exec_lo
	s_delay_alu instid0(VALU_DEP_2) | instskip(NEXT) | instid1(VALU_DEP_1)
	v_cndmask_b32_e64 v5, v5, 0xffffff82, vcc_lo
	v_add3_u32 v117, v62, v5, v64
	v_and_b32_e32 v5, 0x1fffff, v116
                                        ; implicit-def: $vgpr116
	s_delay_alu instid0(VALU_DEP_1) | instskip(NEXT) | instid1(VALU_DEP_1)
	v_dual_add_nc_u32 v47, 14, v117 :: v_dual_add_nc_u32 v64, v5, v4
                                        ; implicit-def: $vgpr4_vgpr5
	v_cmpx_ne_u32_e32 0, v47
	s_xor_b32 s8, exec_lo, s8
; %bb.315:                              ;   in Loop: Header=BB4_85 Depth=2
	s_delay_alu instid0(VALU_DEP_2) | instskip(SKIP_1) | instid1(VALU_DEP_1)
	v_cmp_lt_u64_e32 vcc_lo, 0xffffff, v[64:65]
	v_add_nc_u32_e32 v4, 15, v117
	v_cndmask_b32_e32 v116, v47, v4, vcc_lo
	v_cndmask_b32_e64 v4, 0, 1, vcc_lo
	s_delay_alu instid0(VALU_DEP_1)
	v_lshrrev_b64 v[4:5], v4, v[64:65]
; %bb.316:                              ;   in Loop: Header=BB4_85 Depth=2
	s_and_not1_saveexec_b32 s8, s8
; %bb.317:                              ;   in Loop: Header=BB4_85 Depth=2
	v_mov_b64_e32 v[4:5], v[64:65]
	v_bfe_u32 v116, v64, 23, 1
; %bb.318:                              ;   in Loop: Header=BB4_85 Depth=2
	s_or_b32 exec_lo, exec_lo, s8
	s_delay_alu instid0(VALU_DEP_2) | instskip(NEXT) | instid1(VALU_DEP_2)
	v_lshrrev_b64 v[4:5], 21, v[4:5]
	v_cmp_gt_i32_e32 vcc_lo, 32, v116
	v_min_i32_e32 v64, 31, v116
	v_cmp_eq_u32_e64 s8, 0, v116
	s_delay_alu instid0(VALU_DEP_2) | instskip(SKIP_1) | instid1(VALU_DEP_2)
	v_dual_cndmask_b32 v5, 0, v5 :: v_dual_lshlrev_b32 v64, 2, v64
	v_cndmask_b32_e32 v4, 3, v4, vcc_lo
	v_and_b32_e32 v64, 0xfc, v64
	s_delay_alu instid0(VALU_DEP_2) | instskip(NEXT) | instid1(VALU_DEP_2)
	v_cmp_eq_u64_e32 vcc_lo, 0, v[4:5]
	v_and_or_b32 v4, v4, 3, v64
	s_and_b32 s8, s8, vcc_lo
	s_delay_alu instid0(VALU_DEP_1) | instid1(SALU_CYCLE_1)
	v_cndmask_b32_e64 v4, v4, 0, s8
	s_delay_alu instid0(VALU_DEP_1)
	v_or_b32_e32 v4, v4, v2
.LBB4_319:                              ;   in Loop: Header=BB4_85 Depth=2
	s_or_b32 exec_lo, exec_lo, s22
                                        ; implicit-def: $vgpr2
.LBB4_320:                              ;   in Loop: Header=BB4_85 Depth=2
	s_and_not1_saveexec_b32 s8, s21
; %bb.321:                              ;   in Loop: Header=BB4_85 Depth=2
	v_or_b32_e32 v4, 0x7b, v2
; %bb.322:                              ;   in Loop: Header=BB4_85 Depth=2
	s_or_b32 exec_lo, exec_lo, s8
                                        ; implicit-def: $vgpr5
                                        ; implicit-def: $vgpr2
.LBB4_323:                              ;   in Loop: Header=BB4_85 Depth=2
	s_and_not1_saveexec_b32 s8, s20
	s_cbranch_execz .LBB4_84
; %bb.324:                              ;   in Loop: Header=BB4_85 Depth=2
	s_mov_b32 s20, exec_lo
                                        ; implicit-def: $vgpr4
	v_cmpx_ne_u64_e32 0, v[64:65]
	s_xor_b32 s20, exec_lo, s20
; %bb.325:                              ;   in Loop: Header=BB4_85 Depth=2
	v_or_b32_e32 v4, 0x7f, v2
                                        ; implicit-def: $vgpr5
; %bb.326:                              ;   in Loop: Header=BB4_85 Depth=2
	s_and_not1_saveexec_b32 s20, s20
	s_cbranch_execz .LBB4_83
; %bb.327:                              ;   in Loop: Header=BB4_85 Depth=2
	v_cmp_lt_i32_e32 vcc_lo, -1, v5
	v_cndmask_b32_e32 v4, 0xfc, v59, vcc_lo
	s_branch .LBB4_83
.LBB4_328:                              ;   in Loop: Header=BB4_46 Depth=1
	s_or_b32 exec_lo, exec_lo, s19
.LBB4_329:                              ;   in Loop: Header=BB4_46 Depth=1
	s_delay_alu instid0(SALU_CYCLE_1) | instskip(SKIP_2) | instid1(VALU_DEP_2)
	s_or_b32 exec_lo, exec_lo, s18
	v_and_b32_e32 v64, 0x7ffffff8, v16
	v_cmp_gt_i32_e64 s8, s15, v18
	v_cmp_eq_u64_e32 vcc_lo, 0x7ffffff8, v[64:65]
	s_and_b32 s18, vcc_lo, s8
	s_delay_alu instid0(SALU_CYCLE_1)
	s_and_saveexec_b32 s8, s18
	s_cbranch_execz .LBB4_332
; %bb.330:                              ;   in Loop: Header=BB4_46 Depth=1
	v_mul_lo_u32 v4, v19, s15
	v_mov_b32_e32 v2, v65
	s_mov_b32 s18, 0
	s_delay_alu instid0(VALU_DEP_2) | instskip(NEXT) | instid1(VALU_DEP_1)
	v_dual_ashrrev_i32 v19, 31, v18 :: v_dual_ashrrev_i32 v5, 31, v4
	v_lshlrev_b64_e32 v[4:5], 4, v[4:5]
	s_delay_alu instid0(VALU_DEP_1) | instskip(NEXT) | instid1(VALU_DEP_1)
	v_lshl_add_u64 v[4:5], v[18:19], 4, v[4:5]
	v_add_nc_u64_e32 v[112:113], v[36:37], v[4:5]
.LBB4_331:                              ;   Parent Loop BB4_46 Depth=1
                                        ; =>  This Inner Loop Header: Depth=2
	v_dual_mov_b32 v4, v2 :: v_dual_mov_b32 v5, v3
	v_add_nc_u32_e32 v18, v18, v20
	global_store_b128 v[112:113], v[2:5], off
	v_cmp_le_i32_e32 vcc_lo, s15, v18
	s_wait_xcnt 0x0
	v_add_nc_u64_e32 v[112:113], v[112:113], v[102:103]
	s_or_b32 s18, vcc_lo, s18
	s_delay_alu instid0(SALU_CYCLE_1)
	s_and_not1_b32 exec_lo, exec_lo, s18
	s_cbranch_execnz .LBB4_331
.LBB4_332:                              ;   in Loop: Header=BB4_46 Depth=1
	s_or_b32 exec_lo, exec_lo, s8
	v_add_nc_u64_e32 v[112:113], v[80:81], v[24:25]
	s_wait_loadcnt_dscnt 0x0
	v_add_nc_u64_e32 v[114:115], 1, v[16:17]
	s_and_not1_b32 vcc_lo, exec_lo, s17
	s_cbranch_vccnz .LBB4_974
; %bb.333:                              ;   in Loop: Header=BB4_46 Depth=1
	s_delay_alu instid0(VALU_DEP_2)
	v_add_nc_u64_e32 v[116:117], v[96:97], v[112:113]
	v_add_nc_u16 v62, v16, 1
	s_mov_b32 s18, 2
	s_branch .LBB4_335
.LBB4_334:                              ;   in Loop: Header=BB4_335 Depth=2
	s_or_b32 exec_lo, exec_lo, s8
	v_add_nc_u64_e32 v[34:35], 1, v[34:35]
	v_add_nc_u64_e32 v[114:115], 1, v[114:115]
	v_add_nc_u16 v62, v62, 1
	s_add_co_i32 s18, s18, 1
	s_delay_alu instid0(SALU_CYCLE_1)
	s_cmp_eq_u32 s18, s10
	s_cbranch_scc1 .LBB4_974
.LBB4_335:                              ;   Parent Loop BB4_46 Depth=1
                                        ; =>  This Loop Header: Depth=2
                                        ;       Child Loop BB4_340 Depth 3
                                        ;       Child Loop BB4_359 Depth 3
                                        ;       Child Loop BB4_380 Depth 3
                                        ;         Child Loop BB4_388 Depth 4
                                        ;       Child Loop BB4_963 Depth 3
                                        ;       Child Loop BB4_376 Depth 3
	s_sub_co_i32 s8, s10, s18
	v_readfirstlane_b32 s20, v22
	v_mov_b32_e32 v2, s8
	v_readfirstlane_b32 s21, v23
	flat_load_b32 v4, v2, s[20:21] scale_offset
	s_wait_xcnt 0x0
	s_and_saveexec_b32 s19, s1
	s_cbranch_execz .LBB4_351
; %bb.336:                              ;   in Loop: Header=BB4_335 Depth=2
	v_add_nc_u64_e32 v[2:3], 1, v[14:15]
	v_add_nc_u64_e32 v[16:17], 8, v[54:55]
	s_mov_b32 s20, exec_lo
	s_delay_alu instid0(VALU_DEP_1)
	v_cmpx_lt_u64_e64 v[16:17], v[2:3]
	s_cbranch_execz .LBB4_348
; %bb.337:                              ;   in Loop: Header=BB4_335 Depth=2
	s_mov_b32 s21, 0
	s_mov_b32 s25, 0
	v_cmp_eq_u32_e32 vcc_lo, 0, v60
                                        ; implicit-def: $sgpr22
                                        ; implicit-def: $sgpr23
                                        ; implicit-def: $sgpr24
	s_branch .LBB4_340
.LBB4_338:                              ;   in Loop: Header=BB4_340 Depth=3
	s_or_b32 exec_lo, exec_lo, s40
	s_delay_alu instid0(SALU_CYCLE_1)
	s_and_not1_b32 s8, s24, exec_lo
	s_and_b32 s24, s28, exec_lo
	s_and_not1_b32 s23, s23, exec_lo
	s_and_b32 s27, s27, exec_lo
	s_or_b32 s24, s8, s24
	s_or_b32 s23, s23, s27
.LBB4_339:                              ;   in Loop: Header=BB4_340 Depth=3
	s_or_b32 exec_lo, exec_lo, s26
	s_delay_alu instid0(SALU_CYCLE_1) | instskip(NEXT) | instid1(SALU_CYCLE_1)
	s_and_b32 s8, exec_lo, s23
	s_or_b32 s21, s8, s21
	s_and_not1_b32 s8, s22, exec_lo
	s_and_b32 s22, s24, exec_lo
	s_delay_alu instid0(SALU_CYCLE_1)
	s_or_b32 s22, s8, s22
	s_and_not1_b32 exec_lo, exec_lo, s21
	s_cbranch_execz .LBB4_345
.LBB4_340:                              ;   Parent Loop BB4_46 Depth=1
                                        ;     Parent Loop BB4_335 Depth=2
                                        ; =>    This Inner Loop Header: Depth=3
	s_sleep 1
	s_wait_loadcnt_dscnt 0x0
	flat_load_b64 v[54:55], v[50:51] scope:SCOPE_DEV
	v_mov_b32_e32 v60, 1
	s_or_b32 s24, s24, exec_lo
	s_or_b32 s23, s23, exec_lo
                                        ; implicit-def: $vgpr5
	s_wait_xcnt 0x0
	s_and_saveexec_b32 s26, vcc_lo
	s_cbranch_execz .LBB4_339
; %bb.341:                              ;   in Loop: Header=BB4_340 Depth=3
	s_add_co_i32 s25, s25, 1
	s_mov_b32 s27, -1
	s_cmp_lg_u32 s25, 0x2710
	s_mov_b32 s28, -1
	s_cselect_b32 s29, -1, 0
	s_cmp_eq_u32 s25, 0x2710
                                        ; implicit-def: $vgpr5
	s_cbranch_scc1 .LBB4_343
; %bb.342:                              ;   in Loop: Header=BB4_340 Depth=3
	v_mov_b32_e32 v60, 1
	s_and_saveexec_b32 s40, s29
	s_cbranch_execz .LBB4_338
	s_branch .LBB4_344
.LBB4_343:                              ;   in Loop: Header=BB4_340 Depth=3
	s_trap 2
	ds_load_b64 v[16:17], v0
	s_and_not1_b32 s25, s29, exec_lo
	s_mov_b32 s28, 0
	s_wait_storecnt 0x0
	s_wait_loadcnt_dscnt 0x0
	flat_load_b32 v5, v[16:17] scope:SCOPE_SYS
	s_wait_loadcnt_dscnt 0x0
	global_inv scope:SCOPE_SYS
	v_cmp_eq_u32_e64 s8, 0, v5
	s_and_b32 s8, s8, exec_lo
	s_delay_alu instid0(SALU_CYCLE_1)
	s_or_b32 s29, s25, s8
	s_mov_b32 s25, 0
	v_mov_b32_e32 v60, 1
	s_and_saveexec_b32 s40, s29
	s_cbranch_execz .LBB4_338
.LBB4_344:                              ;   in Loop: Header=BB4_340 Depth=3
	s_wait_loadcnt_dscnt 0x0
	v_add_nc_u64_e32 v[16:17], 8, v[54:55]
	v_mov_b32_e32 v60, 0
	s_or_b32 s28, s28, exec_lo
	s_delay_alu instid0(VALU_DEP_2)
	v_cmp_ge_u64_e64 s8, v[16:17], v[2:3]
	s_or_not1_b32 s27, s8, exec_lo
	s_branch .LBB4_338
.LBB4_345:                              ;   in Loop: Header=BB4_335 Depth=2
	s_or_b32 exec_lo, exec_lo, s21
	s_xor_b32 s8, s22, -1
	s_delay_alu instid0(SALU_CYCLE_1) | instskip(NEXT) | instid1(SALU_CYCLE_1)
	s_and_saveexec_b32 s21, s8
	s_xor_b32 s8, exec_lo, s21
	s_cbranch_execz .LBB4_347
; %bb.346:                              ;   in Loop: Header=BB4_335 Depth=2
	v_mov_b32_e32 v60, 1
	s_wait_storecnt 0x0
	s_wait_loadcnt_dscnt 0x0
	ds_store_b32 v0, v5
	s_trap 2
.LBB4_347:                              ;   in Loop: Header=BB4_335 Depth=2
	s_or_b32 exec_lo, exec_lo, s8
.LBB4_348:                              ;   in Loop: Header=BB4_335 Depth=2
	s_delay_alu instid0(SALU_CYCLE_1)
	s_or_b32 exec_lo, exec_lo, s20
	s_and_saveexec_b32 s8, s2
	s_cbranch_execz .LBB4_350
; %bb.349:                              ;   in Loop: Header=BB4_335 Depth=2
	v_and_b32_e32 v64, 0x7ffffff8, v14
	s_delay_alu instid0(VALU_DEP_1) | instskip(SKIP_1) | instid1(VALU_DEP_1)
	v_cmp_eq_u64_e32 vcc_lo, 0x7ffffff8, v[64:65]
	v_cndmask_b32_e64 v16, v30, s11, vcc_lo
	v_dual_ashrrev_i32 v17, 31, v16 :: v_dual_bitop2_b32 v5, 7, v14 bitop3:0x40
	s_delay_alu instid0(VALU_DEP_1)
	v_mad_nc_u64_u32 v[14:15], v5, 24, v[12:13]
	flat_store_b64 v[14:15], v[16:17] offset:8 scope:SCOPE_SYS
	s_wait_storecnt 0x0
.LBB4_350:                              ;   in Loop: Header=BB4_335 Depth=2
	s_wait_xcnt 0x0
	s_or_b32 exec_lo, exec_lo, s8
	v_mov_b64_e32 v[14:15], v[2:3]
.LBB4_351:                              ;   in Loop: Header=BB4_335 Depth=2
	s_or_b32 exec_lo, exec_lo, s19
	s_and_saveexec_b32 s8, s3
	s_cbranch_execz .LBB4_370
; %bb.352:                              ;   in Loop: Header=BB4_335 Depth=2
	s_and_saveexec_b32 s19, s4
	s_delay_alu instid0(SALU_CYCLE_1)
	s_xor_b32 s19, exec_lo, s19
	s_cbranch_execz .LBB4_367
; %bb.353:                              ;   in Loop: Header=BB4_335 Depth=2
	s_and_saveexec_b32 s20, s5
	s_cbranch_execz .LBB4_366
; %bb.354:                              ;   in Loop: Header=BB4_335 Depth=2
	s_mov_b32 s22, exec_lo
	s_mov_b32 s21, exec_lo
	v_mbcnt_lo_u32_b32 v2, s22, 0
	global_wb scope:SCOPE_DEV
	s_wait_storecnt 0x0
	s_wait_loadcnt_dscnt 0x0
	global_inv scope:SCOPE_DEV
	v_cmpx_eq_u32_e32 0, v2
	s_cbranch_execz .LBB4_356
; %bb.355:                              ;   in Loop: Header=BB4_335 Depth=2
	s_bcnt1_i32_b32 s22, s22
	s_delay_alu instid0(SALU_CYCLE_1)
	v_mov_b32_e32 v64, s22
	s_wait_loadcnt 0x0
	ds_add_u64 v0, v[64:65]
	s_trap 2
.LBB4_356:                              ;   in Loop: Header=BB4_335 Depth=2
	s_or_b32 exec_lo, exec_lo, s21
	s_trap 2
	ds_load_b64 v[2:3], v0
	s_wait_dscnt 0x0
	v_add_nc_u64_e32 v[52:53], v[52:53], v[82:83]
	s_mov_b32 s21, exec_lo
	s_delay_alu instid0(VALU_DEP_1)
	v_cmpx_lt_u64_e64 v[2:3], v[52:53]
	s_cbranch_execz .LBB4_365
; %bb.357:                              ;   in Loop: Header=BB4_335 Depth=2
	s_mov_b32 s22, 0
	s_mov_b32 s25, 0
                                        ; implicit-def: $sgpr23
                                        ; implicit-def: $sgpr24
	s_branch .LBB4_359
.LBB4_358:                              ;   in Loop: Header=BB4_359 Depth=3
	s_or_b32 exec_lo, exec_lo, s27
	s_delay_alu instid0(SALU_CYCLE_1) | instskip(NEXT) | instid1(SALU_CYCLE_1)
	s_and_b32 s26, exec_lo, s28
	s_or_b32 s22, s26, s22
	s_and_not1_b32 s23, s23, exec_lo
	s_and_b32 s26, s24, exec_lo
	s_delay_alu instid0(SALU_CYCLE_1)
	s_or_b32 s23, s23, s26
	s_and_not1_b32 exec_lo, exec_lo, s22
	s_cbranch_execz .LBB4_363
.LBB4_359:                              ;   Parent Loop BB4_46 Depth=1
                                        ;     Parent Loop BB4_335 Depth=2
                                        ; =>    This Inner Loop Header: Depth=3
	s_add_co_i32 s25, s25, 1
	s_delay_alu instid0(SALU_CYCLE_1) | instskip(SKIP_1) | instid1(SALU_CYCLE_1)
	s_cmp_lg_u32 s25, 0x2710
	s_cselect_b32 s26, -1, 0
	s_and_b32 vcc_lo, exec_lo, s26
	s_cbranch_vccz .LBB4_361
; %bb.360:                              ;   in Loop: Header=BB4_359 Depth=3
	s_mov_b32 s28, -1
	s_or_b32 s24, s24, exec_lo
	s_and_saveexec_b32 s27, s26
	s_cbranch_execz .LBB4_358
	s_branch .LBB4_362
.LBB4_361:                              ;   in Loop: Header=BB4_359 Depth=3
	s_trap 2
	ds_load_b64 v[2:3], v0
	s_and_not1_b32 s26, s26, exec_lo
	s_mov_b32 s25, 0
	s_wait_loadcnt_dscnt 0x0
	flat_load_b32 v2, v[2:3] scope:SCOPE_SYS
	s_wait_loadcnt_dscnt 0x0
	global_inv scope:SCOPE_SYS
	v_cmp_eq_u32_e32 vcc_lo, 0, v2
	s_and_b32 s27, vcc_lo, exec_lo
	s_delay_alu instid0(SALU_CYCLE_1)
	s_or_b32 s26, s26, s27
	s_mov_b32 s28, -1
	s_or_b32 s24, s24, exec_lo
	s_and_saveexec_b32 s27, s26
	s_cbranch_execz .LBB4_358
.LBB4_362:                              ;   in Loop: Header=BB4_359 Depth=3
	s_sleep 1
	s_trap 2
	ds_load_b64 v[2:3], v0
	s_wait_dscnt 0x0
	s_and_not1_b32 s24, s24, exec_lo
	v_cmp_ge_u64_e32 vcc_lo, v[2:3], v[52:53]
	s_or_not1_b32 s28, vcc_lo, exec_lo
	s_branch .LBB4_358
.LBB4_363:                              ;   in Loop: Header=BB4_335 Depth=2
	s_or_b32 exec_lo, exec_lo, s22
	s_and_saveexec_b32 s22, s23
	s_delay_alu instid0(SALU_CYCLE_1)
	s_xor_b32 s22, exec_lo, s22
	s_cbranch_execz .LBB4_365
; %bb.364:                              ;   in Loop: Header=BB4_335 Depth=2
	ds_store_b32 v0, v1
	s_trap 2
.LBB4_365:                              ;   in Loop: Header=BB4_335 Depth=2
	s_or_b32 exec_lo, exec_lo, s21
	;;#ASMSTART
	s_wakeup
	;;#ASMEND
.LBB4_366:                              ;   in Loop: Header=BB4_335 Depth=2
	s_or_b32 exec_lo, exec_lo, s20
.LBB4_367:                              ;   in Loop: Header=BB4_335 Depth=2
	s_and_not1_saveexec_b32 s19, s19
	s_cbranch_execz .LBB4_369
; %bb.368:                              ;   in Loop: Header=BB4_335 Depth=2
	global_wb scope:SCOPE_DEV
	s_wait_storecnt 0x0
	s_wait_loadcnt_dscnt 0x0
	global_inv scope:SCOPE_DEV
	s_barrier_signal -1
	s_barrier_wait -1
.LBB4_369:                              ;   in Loop: Header=BB4_335 Depth=2
	s_or_b32 exec_lo, exec_lo, s19
.LBB4_370:                              ;   in Loop: Header=BB4_335 Depth=2
	s_delay_alu instid0(SALU_CYCLE_1)
	s_or_b32 exec_lo, exec_lo, s8
	v_dual_mov_b32 v64, v0 :: v_dual_add_nc_u32 v3, 1, v114
	s_and_saveexec_b32 s19, s7
	s_cbranch_execnz .LBB4_377
; %bb.371:                              ;   in Loop: Header=BB4_335 Depth=2
	s_or_b32 exec_lo, exec_lo, s19
	s_and_saveexec_b32 s8, s3
	s_cbranch_execnz .LBB4_956
.LBB4_372:                              ;   in Loop: Header=BB4_335 Depth=2
	s_or_b32 exec_lo, exec_lo, s8
	s_and_saveexec_b32 s8, s6
	s_cbranch_execz .LBB4_374
.LBB4_373:                              ;   in Loop: Header=BB4_335 Depth=2
	v_add_nc_u64_e32 v[38:39], 1, v[38:39]
	global_wb scope:SCOPE_SYS
	s_wait_storecnt 0x0
	s_wait_loadcnt_dscnt 0x0
	flat_store_b64 v[48:49], v[38:39] scope:SCOPE_SYS
.LBB4_374:                              ;   in Loop: Header=BB4_335 Depth=2
	s_wait_xcnt 0x0
	s_or_b32 exec_lo, exec_lo, s8
	s_wait_loadcnt_dscnt 0x0
	v_and_b32_e32 v4, 0x7ffffff8, v114
	v_mov_b32_e32 v5, v65
	v_cmp_gt_i32_e64 s8, s15, v64
	s_delay_alu instid0(VALU_DEP_2) | instskip(SKIP_1) | instid1(SALU_CYCLE_1)
	v_cmp_eq_u64_e32 vcc_lo, 0x7ffffff8, v[4:5]
	s_and_b32 s19, vcc_lo, s8
	s_and_saveexec_b32 s8, s19
	s_cbranch_execz .LBB4_334
; %bb.375:                              ;   in Loop: Header=BB4_335 Depth=2
	v_dual_ashrrev_i32 v17, 31, v64 :: v_dual_bitop2_b32 v2, 7, v62 bitop3:0x40
	v_mov_b32_e32 v16, v64
	s_mov_b32 s19, 0
	s_delay_alu instid0(VALU_DEP_2) | instskip(NEXT) | instid1(VALU_DEP_1)
	v_mul_lo_u32 v4, s15, v2
	v_dual_mov_b32 v2, v65 :: v_dual_ashrrev_i32 v5, 31, v4
	s_delay_alu instid0(VALU_DEP_1) | instskip(NEXT) | instid1(VALU_DEP_1)
	v_lshlrev_b64_e32 v[4:5], 4, v[4:5]
	v_lshl_add_u64 v[4:5], v[16:17], 4, v[4:5]
	s_delay_alu instid0(VALU_DEP_1)
	v_add_nc_u64_e32 v[16:17], v[36:37], v[4:5]
.LBB4_376:                              ;   Parent Loop BB4_46 Depth=1
                                        ;     Parent Loop BB4_335 Depth=2
                                        ; =>    This Inner Loop Header: Depth=3
	s_delay_alu instid0(VALU_DEP_4) | instskip(SKIP_1) | instid1(VALU_DEP_2)
	v_dual_mov_b32 v4, v2 :: v_dual_add_nc_u32 v64, v64, v20
	v_mov_b32_e32 v5, v3
	v_cmp_le_i32_e32 vcc_lo, s15, v64
	global_store_b128 v[16:17], v[2:5], off
	s_wait_xcnt 0x0
	v_add_nc_u64_e32 v[16:17], v[16:17], v[102:103]
	s_or_b32 s19, vcc_lo, s19
	s_delay_alu instid0(SALU_CYCLE_1)
	s_and_not1_b32 exec_lo, exec_lo, s19
	s_cbranch_execnz .LBB4_376
	s_branch .LBB4_334
.LBB4_377:                              ;   in Loop: Header=BB4_335 Depth=2
	v_and_b32_e32 v2, 7, v34
	s_wait_loadcnt_dscnt 0x0
	v_mad_nc_u64_u32 v[118:119], v68, v4, v[116:117]
	v_dual_mov_b32 v64, v0 :: v_dual_add_nc_u32 v63, 1, v34
	s_mov_b32 s20, 0
	v_mul_lo_u32 v16, v2, s15
	v_dual_mov_b32 v72, v61 :: v_dual_bitop2_b32 v5, 7, v114 bitop3:0x40
	s_delay_alu instid0(VALU_DEP_4) | instskip(SKIP_1) | instid1(VALU_DEP_4)
	v_mad_u32 v2, v69, v4, v119
	v_ashrrev_i32_e32 v4, 31, v4
	v_ashrrev_i32_e32 v17, 31, v16
	s_delay_alu instid0(VALU_DEP_4) | instskip(NEXT) | instid1(VALU_DEP_2)
	v_mul_lo_u32 v18, v5, s15
	v_lshl_add_u64 v[40:41], v[16:17], 4, v[32:33]
	s_delay_alu instid0(VALU_DEP_4) | instskip(NEXT) | instid1(VALU_DEP_3)
	v_mad_u32 v119, v68, v4, v2
	v_ashrrev_i32_e32 v19, 31, v18
	s_delay_alu instid0(VALU_DEP_1)
	v_lshl_add_u64 v[42:43], v[18:19], 4, v[36:37]
	s_branch .LBB4_380
.LBB4_378:                              ;   in Loop: Header=BB4_380 Depth=3
	s_or_b32 exec_lo, exec_lo, s21
.LBB4_379:                              ;   in Loop: Header=BB4_380 Depth=3
	s_delay_alu instid0(SALU_CYCLE_1) | instskip(SKIP_3) | instid1(VALU_DEP_3)
	s_or_b32 exec_lo, exec_lo, s8
	v_dual_lshlrev_b32 v2, 8, v75 :: v_dual_lshlrev_b32 v4, 16, v46
	v_dual_lshlrev_b32 v5, 8, v74 :: v_dual_lshlrev_b32 v17, 16, v44
	v_dual_lshlrev_b32 v18, 24, v47 :: v_dual_sub_nc_u32 v72, v72, v86
	v_or3_b32 v2, v2, v73, v4
	v_lshlrev_b32_e32 v4, 24, v16
	s_delay_alu instid0(VALU_DEP_4)
	v_or3_b32 v5, v5, v19, v17
	v_add_nc_u64_e32 v[118:119], v[118:119], v[86:87]
	v_lshl_add_u64 v[16:17], v[64:65], 4, v[42:43]
	v_or3_b32 v2, v2, v18, 0
	v_add_nc_u32_e32 v64, v64, v20
	v_or3_b32 v4, v5, v4, 0
	v_mov_b32_e32 v5, v3
	v_cmp_gt_i32_e32 vcc_lo, 1, v72
	global_store_b128 v[16:17], v[2:5], off
	s_or_b32 s20, vcc_lo, s20
	s_wait_xcnt 0x0
	s_and_not1_b32 exec_lo, exec_lo, s20
	s_cbranch_execz .LBB4_955
.LBB4_380:                              ;   Parent Loop BB4_46 Depth=1
                                        ;     Parent Loop BB4_335 Depth=2
                                        ; =>    This Loop Header: Depth=3
                                        ;         Child Loop BB4_388 Depth 4
	s_delay_alu instid0(VALU_DEP_3)
	v_dual_mov_b32 v5, v119 :: v_dual_bitop2_b32 v4, -4, v118 bitop3:0x40
	v_min_u32_e32 v16, 8, v72
	v_dual_mov_b32 v74, 0 :: v_dual_bitop2_b32 v17, 3, v118 bitop3:0x40
	v_mov_b32_e32 v76, 0
	global_load_b32 v2, v[4:5], off th:TH_LOAD_NT
	s_mov_b32 s8, exec_lo
	v_add_nc_u32_e32 v16, v17, v16
	s_wait_xcnt 0x0
	s_delay_alu instid0(VALU_DEP_1)
	v_cmpx_lt_u32_e32 4, v16
	s_cbranch_execz .LBB4_382
; %bb.381:                              ;   in Loop: Header=BB4_380 Depth=3
	global_load_b32 v76, v[4:5], off offset:4 th:TH_LOAD_NT
.LBB4_382:                              ;   in Loop: Header=BB4_380 Depth=3
	s_wait_xcnt 0x0
	s_or_b32 exec_lo, exec_lo, s8
	v_mov_b32_e32 v17, v65
	s_mov_b32 s8, exec_lo
	s_delay_alu instid0(VALU_DEP_1)
	v_cmpx_lt_u64_e32 8, v[16:17]
	s_cbranch_execz .LBB4_384
; %bb.383:                              ;   in Loop: Header=BB4_380 Depth=3
	global_load_b32 v74, v[4:5], off offset:8 th:TH_LOAD_NT
.LBB4_384:                              ;   in Loop: Header=BB4_380 Depth=3
	s_wait_xcnt 0x0
	s_or_b32 exec_lo, exec_lo, s8
	v_lshl_add_u64 v[4:5], v[64:65], 4, v[40:41]
	v_cmp_eq_u32_e32 vcc_lo, 0, v60
	v_mov_b32_e32 v60, 1
	global_load_b128 v[16:19], v[4:5], off th:TH_LOAD_NT
	s_wait_xcnt 0x0
	s_and_saveexec_b32 s21, vcc_lo
	s_cbranch_execz .LBB4_396
; %bb.385:                              ;   in Loop: Header=BB4_380 Depth=3
	s_wait_loadcnt 0x0
	v_cmp_ne_u32_e32 vcc_lo, v63, v17
	v_cmp_ne_u32_e64 s8, v63, v19
	v_mov_b32_e32 v60, 0
	s_or_b32 s8, vcc_lo, s8
	s_delay_alu instid0(SALU_CYCLE_1)
	s_and_saveexec_b32 s22, s8
	s_cbranch_execz .LBB4_395
; %bb.386:                              ;   in Loop: Header=BB4_380 Depth=3
	s_mov_b32 s26, 1
	s_mov_b32 s24, 0
                                        ; implicit-def: $sgpr23
                                        ; implicit-def: $sgpr25
	s_branch .LBB4_388
.LBB4_387:                              ;   in Loop: Header=BB4_388 Depth=4
	s_or_b32 exec_lo, exec_lo, s28
	s_delay_alu instid0(SALU_CYCLE_1) | instskip(NEXT) | instid1(SALU_CYCLE_1)
	s_and_b32 s8, exec_lo, s8
	s_or_b32 s24, s8, s24
	s_and_not1_b32 s8, s23, exec_lo
	s_and_b32 s23, s25, exec_lo
	s_delay_alu instid0(SALU_CYCLE_1)
	s_or_b32 s23, s8, s23
	s_and_not1_b32 exec_lo, exec_lo, s24
	s_cbranch_execz .LBB4_392
.LBB4_388:                              ;   Parent Loop BB4_46 Depth=1
                                        ;     Parent Loop BB4_335 Depth=2
                                        ;       Parent Loop BB4_380 Depth=3
                                        ; =>      This Inner Loop Header: Depth=4
	s_wait_loadcnt 0x0
	global_load_b128 v[16:19], v[4:5], off th:TH_LOAD_NT
	s_add_co_i32 s26, s26, 1
	s_mov_b32 s8, -1
	s_cmp_lg_u32 s26, 0x2710
	s_mov_b32 s27, -1
                                        ; implicit-def: $vgpr44
	s_cbranch_scc0 .LBB4_390
; %bb.389:                              ;   in Loop: Header=BB4_388 Depth=4
	s_or_b32 s25, s25, exec_lo
	s_wait_xcnt 0x0
	s_and_saveexec_b32 s28, s27
	s_cbranch_execz .LBB4_387
	s_branch .LBB4_391
.LBB4_390:                              ;   in Loop: Header=BB4_388 Depth=4
	s_trap 2
	ds_load_b64 v[44:45], v0
	s_mov_b32 s26, 0
	s_wait_storecnt 0x0
	s_wait_loadcnt_dscnt 0x0
	flat_load_b32 v44, v[44:45] scope:SCOPE_SYS
	s_wait_loadcnt_dscnt 0x0
	global_inv scope:SCOPE_SYS
	v_cmp_eq_u32_e32 vcc_lo, 0, v44
	s_or_not1_b32 s27, vcc_lo, exec_lo
	s_or_b32 s25, s25, exec_lo
	s_wait_xcnt 0x0
	s_and_saveexec_b32 s28, s27
	s_cbranch_execz .LBB4_387
.LBB4_391:                              ;   in Loop: Header=BB4_388 Depth=4
	s_wait_loadcnt 0x0
	v_cmp_eq_u32_e32 vcc_lo, v63, v17
	v_cmp_eq_u32_e64 s8, v63, v19
	s_and_not1_b32 s25, s25, exec_lo
	s_and_b32 s8, vcc_lo, s8
	s_delay_alu instid0(SALU_CYCLE_1)
	s_or_not1_b32 s8, s8, exec_lo
	s_branch .LBB4_387
.LBB4_392:                              ;   in Loop: Header=BB4_380 Depth=3
	s_or_b32 exec_lo, exec_lo, s24
	v_mov_b32_e32 v60, 0
	s_and_saveexec_b32 s8, s23
	s_delay_alu instid0(SALU_CYCLE_1)
	s_xor_b32 s8, exec_lo, s8
	s_cbranch_execz .LBB4_394
; %bb.393:                              ;   in Loop: Header=BB4_380 Depth=3
	v_mov_b32_e32 v60, 1
	s_wait_loadcnt 0x0
	s_wait_storecnt 0x0
	ds_store_b32 v0, v44
	s_trap 2
.LBB4_394:                              ;   in Loop: Header=BB4_380 Depth=3
	s_or_b32 exec_lo, exec_lo, s8
.LBB4_395:                              ;   in Loop: Header=BB4_380 Depth=3
	s_delay_alu instid0(SALU_CYCLE_1)
	s_or_b32 exec_lo, exec_lo, s22
.LBB4_396:                              ;   in Loop: Header=BB4_380 Depth=3
	s_delay_alu instid0(SALU_CYCLE_1) | instskip(SKIP_2) | instid1(VALU_DEP_1)
	s_or_b32 exec_lo, exec_lo, s21
	v_dual_lshlrev_b32 v77, 3, v118 :: v_dual_mov_b32 v5, v65
	s_wait_loadcnt 0x1
	v_alignbit_b32 v4, v76, v2, v77
	s_delay_alu instid0(VALU_DEP_1) | instskip(NEXT) | instid1(VALU_DEP_1)
	v_and_b32_e32 v2, 0xff, v4
	v_cmp_ne_u16_e32 vcc_lo, 0, v2
	v_mov_b32_e32 v2, 0
	s_and_saveexec_b32 s8, vcc_lo
	s_cbranch_execz .LBB4_406
; %bb.397:                              ;   in Loop: Header=BB4_380 Depth=3
	v_bfe_i32 v45, v4, 0, 8
	v_bfrev_b32_e32 v2, 1
	s_mov_b32 s21, exec_lo
	s_delay_alu instid0(VALU_DEP_2)
	v_cmpx_ne_u16_e32 0xff80, v45
	s_cbranch_execz .LBB4_405
; %bb.398:                              ;   in Loop: Header=BB4_380 Depth=3
	v_and_b32_e32 v2, 0x7c, v4
	v_and_b32_e32 v44, 3, v4
	s_delay_alu instid0(VALU_DEP_2) | instskip(SKIP_1) | instid1(SALU_CYCLE_1)
	v_cmp_ne_u32_e32 vcc_lo, 0x7c, v2
                                        ; implicit-def: $vgpr2
	s_and_saveexec_b32 s22, vcc_lo
	s_xor_b32 s22, exec_lo, s22
	s_cbranch_execz .LBB4_402
; %bb.399:                              ;   in Loop: Header=BB4_380 Depth=3
	v_bfe_u32 v2, v4, 2, 5
	s_mov_b32 s23, exec_lo
	s_delay_alu instid0(VALU_DEP_1)
	v_cmpx_eq_u32_e32 0, v2
; %bb.400:                              ;   in Loop: Header=BB4_380 Depth=3
	v_clz_i32_u32_e32 v2, v44
	s_delay_alu instid0(VALU_DEP_1) | instskip(NEXT) | instid1(VALU_DEP_1)
	v_min_u32_e32 v2, 32, v2
	v_subrev_nc_u32_e32 v44, 29, v2
	s_delay_alu instid0(VALU_DEP_1) | instskip(NEXT) | instid1(VALU_DEP_1)
	v_lshlrev_b64_e32 v[44:45], v44, v[4:5]
	v_dual_sub_nc_u32 v2, 30, v2 :: v_dual_bitop2_b32 v44, 3, v44 bitop3:0x40
; %bb.401:                              ;   in Loop: Header=BB4_380 Depth=3
	s_or_b32 exec_lo, exec_lo, s23
	v_lshlrev_b32_e32 v5, 24, v4
                                        ; implicit-def: $vgpr45
	s_delay_alu instid0(VALU_DEP_1) | instskip(NEXT) | instid1(VALU_DEP_1)
	v_and_b32_e32 v5, 0x80000000, v5
	v_lshl_add_u32 v2, v2, 23, v5
	s_delay_alu instid0(VALU_DEP_1) | instskip(NEXT) | instid1(VALU_DEP_1)
	v_lshl_or_b32 v2, v44, 21, v2
                                        ; implicit-def: $vgpr44
	v_add_nc_u32_e32 v2, 0x38000000, v2
.LBB4_402:                              ;   in Loop: Header=BB4_380 Depth=3
	s_and_not1_saveexec_b32 s22, s22
; %bb.403:                              ;   in Loop: Header=BB4_380 Depth=3
	v_cmp_lt_i16_e32 vcc_lo, -1, v45
	v_cndmask_b32_e32 v2, 0xff800000, v21, vcc_lo
	v_cmp_eq_u32_e32 vcc_lo, 0, v44
	s_delay_alu instid0(VALU_DEP_2)
	v_cndmask_b32_e32 v2, 0x7f800001, v2, vcc_lo
; %bb.404:                              ;   in Loop: Header=BB4_380 Depth=3
	s_or_b32 exec_lo, exec_lo, s22
.LBB4_405:                              ;   in Loop: Header=BB4_380 Depth=3
	s_delay_alu instid0(SALU_CYCLE_1)
	s_or_b32 exec_lo, exec_lo, s21
.LBB4_406:                              ;   in Loop: Header=BB4_380 Depth=3
	s_delay_alu instid0(SALU_CYCLE_1) | instskip(NEXT) | instid1(VALU_DEP_1)
	s_or_b32 exec_lo, exec_lo, s8
	v_dual_mul_f32 v5, v56, v2 :: v_dual_mov_b32 v47, v65
	v_mov_b32_e32 v45, v65
                                        ; implicit-def: $vgpr73
	s_mov_b32 s8, exec_lo
	s_delay_alu instid0(VALU_DEP_2) | instskip(SKIP_2) | instid1(VALU_DEP_3)
	v_and_b32_e32 v46, 0x7f800000, v5
	v_and_b32_e32 v44, 0x7fffff, v5
	v_lshrrev_b32_e32 v2, 24, v5
	v_cmpx_ne_u64_e32 0x7f800000, v[46:47]
	s_xor_b32 s21, exec_lo, s8
	s_cbranch_execz .LBB4_420
; %bb.407:                              ;   in Loop: Header=BB4_380 Depth=3
	v_and_b32_e32 v46, 0x7fffffff, v5
	v_mov_b32_e32 v47, v65
	v_and_b32_e32 v2, 0x80, v2
                                        ; implicit-def: $vgpr73
	s_mov_b32 s8, exec_lo
	s_delay_alu instid0(VALU_DEP_2)
	v_cmpx_gt_u64_e32 0x47600001, v[46:47]
	s_xor_b32 s22, exec_lo, s8
	s_cbranch_execz .LBB4_417
; %bb.408:                              ;   in Loop: Header=BB4_380 Depth=3
	v_mov_b32_e32 v73, 0
	s_mov_b32 s23, exec_lo
	v_cmpx_ne_u32_e32 0, v5
	s_cbranch_execz .LBB4_416
; %bb.409:                              ;   in Loop: Header=BB4_380 Depth=3
	v_bfe_u32 v5, v5, 23, 8
	v_or_b32_e32 v75, 0x800000, v44
	s_delay_alu instid0(VALU_DEP_2) | instskip(SKIP_1) | instid1(VALU_DEP_2)
	v_sub_nc_u32_e32 v46, 0x71, v5
	v_cmp_gt_u32_e32 vcc_lo, 0x72, v5
	v_cndmask_b32_e32 v46, 0, v46, vcc_lo
	v_cmp_eq_u32_e32 vcc_lo, 0, v5
	s_delay_alu instid0(VALU_DEP_2) | instskip(NEXT) | instid1(VALU_DEP_1)
	v_cndmask_b32_e64 v73, v46, 0x70, vcc_lo
	v_dual_cndmask_b32 v44, v75, v44, vcc_lo :: v_dual_add_nc_u32 v46, 21, v73
	v_add_nc_u32_e32 v78, 20, v73
	s_delay_alu instid0(VALU_DEP_2) | instskip(NEXT) | instid1(VALU_DEP_2)
	v_lshlrev_b64_e64 v[46:47], v46, -1
	v_lshlrev_b64_e64 v[78:79], v78, 1
	s_delay_alu instid0(VALU_DEP_2) | instskip(SKIP_1) | instid1(VALU_DEP_4)
	v_bfi_b32 v46, v46, 0, v44
	v_lshrrev_b64 v[44:45], v73, v[44:45]
	v_bfi_b32 v47, v47, 0, 0
	s_delay_alu instid0(VALU_DEP_1) | instskip(NEXT) | instid1(VALU_DEP_3)
	v_cmp_eq_u64_e64 s8, v[46:47], v[78:79]
	v_mov_b64_e32 v[46:47], v[44:45]
	s_and_saveexec_b32 s24, s8
; %bb.410:                              ;   in Loop: Header=BB4_380 Depth=3
	v_bfe_u32 v46, v44, 21, 1
	v_mov_b32_e32 v47, v65
	s_delay_alu instid0(VALU_DEP_1) | instskip(NEXT) | instid1(VALU_DEP_1)
	v_add_nc_u64_e32 v[46:47], v[44:45], v[46:47]
	v_add_nc_u64_e32 v[46:47], -1, v[46:47]
; %bb.411:                              ;   in Loop: Header=BB4_380 Depth=3
	s_or_b32 exec_lo, exec_lo, s24
	v_add_nc_u32_e32 v5, 0xffffff81, v5
	v_lshrrev_b32_e32 v45, 23, v44
	s_mov_b32 s8, exec_lo
	s_delay_alu instid0(VALU_DEP_2) | instskip(NEXT) | instid1(VALU_DEP_1)
	v_cndmask_b32_e64 v5, v5, 0xffffff82, vcc_lo
	v_add3_u32 v47, v73, v5, v45
	v_and_b32_e32 v5, 0x1fffff, v46
	s_delay_alu instid0(VALU_DEP_2) | instskip(NEXT) | instid1(VALU_DEP_2)
	v_dual_mov_b32 v45, v65 :: v_dual_add_nc_u32 v46, 14, v47
	v_add_nc_u32_e32 v44, v5, v44
                                        ; implicit-def: $vgpr5
	s_delay_alu instid0(VALU_DEP_2)
	v_cmpx_ne_u32_e32 0, v46
	s_xor_b32 s8, exec_lo, s8
; %bb.412:                              ;   in Loop: Header=BB4_380 Depth=3
	s_delay_alu instid0(VALU_DEP_2) | instskip(SKIP_1) | instid1(VALU_DEP_1)
	v_cmp_lt_u64_e32 vcc_lo, 0xffffff, v[44:45]
	v_add_nc_u32_e32 v5, 15, v47
	v_cndmask_b32_e32 v5, v46, v5, vcc_lo
	v_cndmask_b32_e64 v46, 0, 1, vcc_lo
	s_delay_alu instid0(VALU_DEP_1)
	v_lshrrev_b64 v[44:45], v46, v[44:45]
; %bb.413:                              ;   in Loop: Header=BB4_380 Depth=3
	s_and_not1_saveexec_b32 s8, s8
; %bb.414:                              ;   in Loop: Header=BB4_380 Depth=3
	s_delay_alu instid0(VALU_DEP_1)
	v_bfe_u32 v5, v44, 23, 1
; %bb.415:                              ;   in Loop: Header=BB4_380 Depth=3
	s_or_b32 exec_lo, exec_lo, s8
	s_delay_alu instid0(VALU_DEP_2) | instskip(NEXT) | instid1(VALU_DEP_2)
	v_lshrrev_b64 v[44:45], 21, v[44:45]
	v_cmp_gt_i32_e32 vcc_lo, 32, v5
	v_min_i32_e32 v46, 31, v5
	v_cmp_eq_u32_e64 s8, 0, v5
	s_delay_alu instid0(VALU_DEP_2) | instskip(SKIP_1) | instid1(VALU_DEP_2)
	v_dual_cndmask_b32 v44, 3, v44, vcc_lo :: v_dual_lshlrev_b32 v46, 2, v46
	v_cndmask_b32_e32 v45, 0, v45, vcc_lo
	v_and_b32_e32 v46, 0xfc, v46
	s_delay_alu instid0(VALU_DEP_2) | instskip(NEXT) | instid1(VALU_DEP_2)
	v_cmp_eq_u64_e32 vcc_lo, 0, v[44:45]
	v_and_or_b32 v5, v44, 3, v46
	s_and_b32 s8, s8, vcc_lo
	s_delay_alu instid0(VALU_DEP_1) | instid1(SALU_CYCLE_1)
	v_cndmask_b32_e64 v5, v5, 0, s8
	s_delay_alu instid0(VALU_DEP_1)
	v_or_b32_e32 v73, v5, v2
.LBB4_416:                              ;   in Loop: Header=BB4_380 Depth=3
	s_or_b32 exec_lo, exec_lo, s23
                                        ; implicit-def: $vgpr2
.LBB4_417:                              ;   in Loop: Header=BB4_380 Depth=3
	s_and_not1_saveexec_b32 s8, s22
; %bb.418:                              ;   in Loop: Header=BB4_380 Depth=3
	v_or_b32_e32 v73, 0x7b, v2
; %bb.419:                              ;   in Loop: Header=BB4_380 Depth=3
	s_or_b32 exec_lo, exec_lo, s8
                                        ; implicit-def: $vgpr5
                                        ; implicit-def: $vgpr44_vgpr45
                                        ; implicit-def: $vgpr2
.LBB4_420:                              ;   in Loop: Header=BB4_380 Depth=3
	s_and_not1_saveexec_b32 s8, s21
	s_cbranch_execz .LBB4_426
; %bb.421:                              ;   in Loop: Header=BB4_380 Depth=3
	s_mov_b32 s21, exec_lo
                                        ; implicit-def: $vgpr73
	v_cmpx_ne_u64_e32 0, v[44:45]
	s_xor_b32 s21, exec_lo, s21
; %bb.422:                              ;   in Loop: Header=BB4_380 Depth=3
	v_or_b32_e32 v73, 0x7f, v2
                                        ; implicit-def: $vgpr5
; %bb.423:                              ;   in Loop: Header=BB4_380 Depth=3
	s_and_not1_saveexec_b32 s21, s21
; %bb.424:                              ;   in Loop: Header=BB4_380 Depth=3
	v_cmp_lt_i32_e32 vcc_lo, -1, v5
	v_cndmask_b32_e32 v73, 0xfc, v59, vcc_lo
; %bb.425:                              ;   in Loop: Header=BB4_380 Depth=3
	s_or_b32 exec_lo, exec_lo, s21
.LBB4_426:                              ;   in Loop: Header=BB4_380 Depth=3
	s_delay_alu instid0(SALU_CYCLE_1) | instskip(SKIP_3) | instid1(VALU_DEP_2)
	s_or_b32 exec_lo, exec_lo, s8
	v_lshrrev_b16 v44, 8, v4
	v_mov_b32_e32 v5, 0
	s_mov_b32 s8, exec_lo
	v_cmpx_ne_u16_e32 0, v44
	s_cbranch_execz .LBB4_436
; %bb.427:                              ;   in Loop: Header=BB4_380 Depth=3
	v_bfrev_b32_e32 v5, 1
	s_mov_b32 s21, exec_lo
	v_cmpx_ne_u16_e32 0x80, v44
	s_cbranch_execz .LBB4_435
; %bb.428:                              ;   in Loop: Header=BB4_380 Depth=3
	v_and_b32_e32 v45, 0xffff, v44
	s_delay_alu instid0(VALU_DEP_1) | instskip(SKIP_1) | instid1(VALU_DEP_2)
	v_and_b32_e32 v5, 0x7c, v45
	v_and_b32_e32 v2, 3, v45
	v_cmp_ne_u32_e32 vcc_lo, 0x7c, v5
                                        ; implicit-def: $vgpr5
	s_and_saveexec_b32 s22, vcc_lo
	s_delay_alu instid0(SALU_CYCLE_1)
	s_xor_b32 s22, exec_lo, s22
	s_cbranch_execz .LBB4_432
; %bb.429:                              ;   in Loop: Header=BB4_380 Depth=3
	v_bfe_u32 v5, v45, 2, 5
	s_mov_b32 s23, exec_lo
	s_delay_alu instid0(VALU_DEP_1)
	v_cmpx_eq_u32_e32 0, v5
; %bb.430:                              ;   in Loop: Header=BB4_380 Depth=3
	v_clz_i32_u32_e32 v2, v2
	s_delay_alu instid0(VALU_DEP_1) | instskip(SKIP_1) | instid1(VALU_DEP_2)
	v_min_u32_e32 v2, 32, v2
	v_mov_b32_e32 v45, v65
	v_subrev_nc_u32_e32 v5, 29, v2
	s_delay_alu instid0(VALU_DEP_1) | instskip(NEXT) | instid1(VALU_DEP_1)
	v_lshlrev_b64_e32 v[44:45], v5, v[44:45]
	v_dual_sub_nc_u32 v5, 30, v2 :: v_dual_bitop2_b32 v2, 3, v44 bitop3:0x40
; %bb.431:                              ;   in Loop: Header=BB4_380 Depth=3
	s_or_b32 exec_lo, exec_lo, s23
	v_lshlrev_b32_e32 v44, 16, v4
	s_delay_alu instid0(VALU_DEP_1) | instskip(NEXT) | instid1(VALU_DEP_1)
	v_and_b32_e32 v44, 0x80000000, v44
	v_lshl_add_u32 v5, v5, 23, v44
	s_delay_alu instid0(VALU_DEP_1) | instskip(NEXT) | instid1(VALU_DEP_1)
	v_lshl_or_b32 v2, v2, 21, v5
	v_add_nc_u32_e32 v5, 0x38000000, v2
                                        ; implicit-def: $vgpr2
.LBB4_432:                              ;   in Loop: Header=BB4_380 Depth=3
	s_and_not1_saveexec_b32 s22, s22
; %bb.433:                              ;   in Loop: Header=BB4_380 Depth=3
	v_cmp_lt_i16_e32 vcc_lo, -1, v4
	v_cndmask_b32_e32 v5, 0xff800000, v21, vcc_lo
	v_cmp_eq_u32_e32 vcc_lo, 0, v2
	s_delay_alu instid0(VALU_DEP_2)
	v_cndmask_b32_e32 v5, 0x7f800001, v5, vcc_lo
; %bb.434:                              ;   in Loop: Header=BB4_380 Depth=3
	s_or_b32 exec_lo, exec_lo, s22
.LBB4_435:                              ;   in Loop: Header=BB4_380 Depth=3
	s_delay_alu instid0(SALU_CYCLE_1)
	s_or_b32 exec_lo, exec_lo, s21
.LBB4_436:                              ;   in Loop: Header=BB4_380 Depth=3
	s_delay_alu instid0(SALU_CYCLE_1) | instskip(NEXT) | instid1(VALU_DEP_1)
	s_or_b32 exec_lo, exec_lo, s8
	v_dual_mul_f32 v5, v56, v5 :: v_dual_mov_b32 v47, v65
	v_mov_b32_e32 v45, v65
                                        ; implicit-def: $vgpr75
	s_mov_b32 s8, exec_lo
	s_delay_alu instid0(VALU_DEP_2) | instskip(SKIP_2) | instid1(VALU_DEP_3)
	v_and_b32_e32 v46, 0x7f800000, v5
	v_and_b32_e32 v44, 0x7fffff, v5
	v_lshrrev_b32_e32 v2, 24, v5
	v_cmpx_ne_u64_e32 0x7f800000, v[46:47]
	s_xor_b32 s21, exec_lo, s8
	s_cbranch_execz .LBB4_450
; %bb.437:                              ;   in Loop: Header=BB4_380 Depth=3
	v_and_b32_e32 v46, 0x7fffffff, v5
	v_mov_b32_e32 v47, v65
	v_and_b32_e32 v2, 0x80, v2
                                        ; implicit-def: $vgpr75
	s_mov_b32 s8, exec_lo
	s_delay_alu instid0(VALU_DEP_2)
	v_cmpx_gt_u64_e32 0x47600001, v[46:47]
	s_xor_b32 s22, exec_lo, s8
	s_cbranch_execz .LBB4_447
; %bb.438:                              ;   in Loop: Header=BB4_380 Depth=3
	v_mov_b32_e32 v75, 0
	s_mov_b32 s23, exec_lo
	v_cmpx_ne_u32_e32 0, v5
	s_cbranch_execz .LBB4_446
; %bb.439:                              ;   in Loop: Header=BB4_380 Depth=3
	v_bfe_u32 v5, v5, 23, 8
	v_or_b32_e32 v78, 0x800000, v44
	s_delay_alu instid0(VALU_DEP_2) | instskip(SKIP_1) | instid1(VALU_DEP_2)
	v_sub_nc_u32_e32 v46, 0x71, v5
	v_cmp_gt_u32_e32 vcc_lo, 0x72, v5
	v_cndmask_b32_e32 v46, 0, v46, vcc_lo
	v_cmp_eq_u32_e32 vcc_lo, 0, v5
	s_delay_alu instid0(VALU_DEP_2) | instskip(NEXT) | instid1(VALU_DEP_1)
	v_cndmask_b32_e64 v75, v46, 0x70, vcc_lo
	v_dual_cndmask_b32 v44, v78, v44, vcc_lo :: v_dual_add_nc_u32 v46, 21, v75
	v_add_nc_u32_e32 v79, 20, v75
	s_delay_alu instid0(VALU_DEP_2) | instskip(NEXT) | instid1(VALU_DEP_2)
	v_lshlrev_b64_e64 v[46:47], v46, -1
	v_lshlrev_b64_e64 v[78:79], v79, 1
	s_delay_alu instid0(VALU_DEP_2) | instskip(SKIP_1) | instid1(VALU_DEP_4)
	v_bfi_b32 v46, v46, 0, v44
	v_lshrrev_b64 v[44:45], v75, v[44:45]
	v_bfi_b32 v47, v47, 0, 0
	s_delay_alu instid0(VALU_DEP_1) | instskip(NEXT) | instid1(VALU_DEP_3)
	v_cmp_eq_u64_e64 s8, v[46:47], v[78:79]
	v_mov_b64_e32 v[46:47], v[44:45]
	s_and_saveexec_b32 s24, s8
; %bb.440:                              ;   in Loop: Header=BB4_380 Depth=3
	v_bfe_u32 v46, v44, 21, 1
	v_mov_b32_e32 v47, v65
	s_delay_alu instid0(VALU_DEP_1) | instskip(NEXT) | instid1(VALU_DEP_1)
	v_add_nc_u64_e32 v[46:47], v[44:45], v[46:47]
	v_add_nc_u64_e32 v[46:47], -1, v[46:47]
; %bb.441:                              ;   in Loop: Header=BB4_380 Depth=3
	s_or_b32 exec_lo, exec_lo, s24
	v_add_nc_u32_e32 v5, 0xffffff81, v5
	v_lshrrev_b32_e32 v45, 23, v44
	s_mov_b32 s8, exec_lo
	s_delay_alu instid0(VALU_DEP_2) | instskip(NEXT) | instid1(VALU_DEP_1)
	v_cndmask_b32_e64 v5, v5, 0xffffff82, vcc_lo
	v_add3_u32 v47, v75, v5, v45
	v_and_b32_e32 v5, 0x1fffff, v46
	s_delay_alu instid0(VALU_DEP_2) | instskip(NEXT) | instid1(VALU_DEP_2)
	v_dual_mov_b32 v45, v65 :: v_dual_add_nc_u32 v46, 14, v47
	v_add_nc_u32_e32 v44, v5, v44
                                        ; implicit-def: $vgpr5
	s_delay_alu instid0(VALU_DEP_2)
	v_cmpx_ne_u32_e32 0, v46
	s_xor_b32 s8, exec_lo, s8
; %bb.442:                              ;   in Loop: Header=BB4_380 Depth=3
	s_delay_alu instid0(VALU_DEP_2) | instskip(SKIP_1) | instid1(VALU_DEP_1)
	v_cmp_lt_u64_e32 vcc_lo, 0xffffff, v[44:45]
	v_add_nc_u32_e32 v5, 15, v47
	v_cndmask_b32_e32 v5, v46, v5, vcc_lo
	v_cndmask_b32_e64 v46, 0, 1, vcc_lo
	s_delay_alu instid0(VALU_DEP_1)
	v_lshrrev_b64 v[44:45], v46, v[44:45]
; %bb.443:                              ;   in Loop: Header=BB4_380 Depth=3
	s_and_not1_saveexec_b32 s8, s8
; %bb.444:                              ;   in Loop: Header=BB4_380 Depth=3
	s_delay_alu instid0(VALU_DEP_1)
	v_bfe_u32 v5, v44, 23, 1
; %bb.445:                              ;   in Loop: Header=BB4_380 Depth=3
	s_or_b32 exec_lo, exec_lo, s8
	s_delay_alu instid0(VALU_DEP_2) | instskip(NEXT) | instid1(VALU_DEP_2)
	v_lshrrev_b64 v[44:45], 21, v[44:45]
	v_cmp_gt_i32_e32 vcc_lo, 32, v5
	v_min_i32_e32 v46, 31, v5
	v_cmp_eq_u32_e64 s8, 0, v5
	s_delay_alu instid0(VALU_DEP_2) | instskip(SKIP_1) | instid1(VALU_DEP_2)
	v_dual_cndmask_b32 v44, 3, v44, vcc_lo :: v_dual_lshlrev_b32 v46, 2, v46
	v_cndmask_b32_e32 v45, 0, v45, vcc_lo
	v_and_b32_e32 v46, 0xfc, v46
	s_delay_alu instid0(VALU_DEP_2) | instskip(NEXT) | instid1(VALU_DEP_2)
	v_cmp_eq_u64_e32 vcc_lo, 0, v[44:45]
	v_and_or_b32 v5, v44, 3, v46
	s_and_b32 s8, s8, vcc_lo
	s_delay_alu instid0(VALU_DEP_1) | instid1(SALU_CYCLE_1)
	v_cndmask_b32_e64 v5, v5, 0, s8
	s_delay_alu instid0(VALU_DEP_1)
	v_or_b32_e32 v75, v5, v2
.LBB4_446:                              ;   in Loop: Header=BB4_380 Depth=3
	s_or_b32 exec_lo, exec_lo, s23
                                        ; implicit-def: $vgpr2
.LBB4_447:                              ;   in Loop: Header=BB4_380 Depth=3
	s_and_not1_saveexec_b32 s8, s22
; %bb.448:                              ;   in Loop: Header=BB4_380 Depth=3
	v_or_b32_e32 v75, 0x7b, v2
; %bb.449:                              ;   in Loop: Header=BB4_380 Depth=3
	s_or_b32 exec_lo, exec_lo, s8
                                        ; implicit-def: $vgpr5
                                        ; implicit-def: $vgpr44_vgpr45
                                        ; implicit-def: $vgpr2
.LBB4_450:                              ;   in Loop: Header=BB4_380 Depth=3
	s_and_not1_saveexec_b32 s8, s21
	s_cbranch_execz .LBB4_456
; %bb.451:                              ;   in Loop: Header=BB4_380 Depth=3
	s_mov_b32 s21, exec_lo
                                        ; implicit-def: $vgpr75
	v_cmpx_ne_u64_e32 0, v[44:45]
	s_xor_b32 s21, exec_lo, s21
; %bb.452:                              ;   in Loop: Header=BB4_380 Depth=3
	v_or_b32_e32 v75, 0x7f, v2
                                        ; implicit-def: $vgpr5
; %bb.453:                              ;   in Loop: Header=BB4_380 Depth=3
	s_and_not1_saveexec_b32 s21, s21
; %bb.454:                              ;   in Loop: Header=BB4_380 Depth=3
	v_cmp_lt_i32_e32 vcc_lo, -1, v5
	v_cndmask_b32_e32 v75, 0xfc, v59, vcc_lo
; %bb.455:                              ;   in Loop: Header=BB4_380 Depth=3
	s_or_b32 exec_lo, exec_lo, s21
.LBB4_456:                              ;   in Loop: Header=BB4_380 Depth=3
	s_delay_alu instid0(SALU_CYCLE_1) | instskip(SKIP_2) | instid1(VALU_DEP_1)
	s_or_b32 exec_lo, exec_lo, s8
	v_dual_lshrrev_b32 v44, 16, v4 :: v_dual_mov_b32 v2, 0
	s_mov_b32 s8, exec_lo
	v_and_b32_e32 v5, 0xff, v44
	s_delay_alu instid0(VALU_DEP_1)
	v_cmpx_ne_u16_e32 0, v5
	s_cbranch_execz .LBB4_466
; %bb.457:                              ;   in Loop: Header=BB4_380 Depth=3
	v_bfrev_b32_e32 v2, 1
	s_mov_b32 s21, exec_lo
	v_cmpx_ne_u16_e32 0x80, v5
	s_cbranch_execz .LBB4_465
; %bb.458:                              ;   in Loop: Header=BB4_380 Depth=3
	v_and_b32_e32 v2, 0x7c0000, v4
	v_bfe_u32 v5, v4, 16, 2
	s_delay_alu instid0(VALU_DEP_2) | instskip(SKIP_1) | instid1(SALU_CYCLE_1)
	v_cmp_ne_u32_e32 vcc_lo, 0x7c0000, v2
                                        ; implicit-def: $vgpr2
	s_and_saveexec_b32 s22, vcc_lo
	s_xor_b32 s22, exec_lo, s22
	s_cbranch_execz .LBB4_462
; %bb.459:                              ;   in Loop: Header=BB4_380 Depth=3
	v_bfe_u32 v44, v4, 18, 5
	v_lshrrev_b32_e32 v2, 16, v4
	s_mov_b32 s23, exec_lo
	s_delay_alu instid0(VALU_DEP_2)
	v_cmpx_eq_u32_e32 0, v44
; %bb.460:                              ;   in Loop: Header=BB4_380 Depth=3
	v_clz_i32_u32_e32 v5, v5
	s_delay_alu instid0(VALU_DEP_1) | instskip(NEXT) | instid1(VALU_DEP_1)
	v_min_u32_e32 v5, 32, v5
	v_subrev_nc_u32_e32 v44, 29, v5
	s_delay_alu instid0(VALU_DEP_1) | instskip(NEXT) | instid1(VALU_DEP_1)
	v_lshlrev_b64_e32 v[46:47], v44, v[2:3]
	v_dual_sub_nc_u32 v44, 30, v5 :: v_dual_bitop2_b32 v5, 3, v46 bitop3:0x40
; %bb.461:                              ;   in Loop: Header=BB4_380 Depth=3
	s_or_b32 exec_lo, exec_lo, s23
	v_lshlrev_b32_e32 v2, 24, v2
	s_delay_alu instid0(VALU_DEP_1) | instskip(NEXT) | instid1(VALU_DEP_1)
	v_and_b32_e32 v2, 0x80000000, v2
	v_lshl_add_u32 v2, v44, 23, v2
                                        ; implicit-def: $vgpr44
	s_delay_alu instid0(VALU_DEP_1) | instskip(NEXT) | instid1(VALU_DEP_1)
	v_lshl_or_b32 v2, v5, 21, v2
                                        ; implicit-def: $vgpr5
	v_add_nc_u32_e32 v2, 0x38000000, v2
.LBB4_462:                              ;   in Loop: Header=BB4_380 Depth=3
	s_and_not1_saveexec_b32 s22, s22
; %bb.463:                              ;   in Loop: Header=BB4_380 Depth=3
	v_bfe_i32 v2, v44, 0, 8
	s_delay_alu instid0(VALU_DEP_1) | instskip(SKIP_2) | instid1(VALU_DEP_2)
	v_cmp_lt_i16_e32 vcc_lo, -1, v2
	v_cndmask_b32_e32 v2, 0xff800000, v21, vcc_lo
	v_cmp_eq_u32_e32 vcc_lo, 0, v5
	v_cndmask_b32_e32 v2, 0x7f800001, v2, vcc_lo
; %bb.464:                              ;   in Loop: Header=BB4_380 Depth=3
	s_or_b32 exec_lo, exec_lo, s22
.LBB4_465:                              ;   in Loop: Header=BB4_380 Depth=3
	s_delay_alu instid0(SALU_CYCLE_1)
	s_or_b32 exec_lo, exec_lo, s21
.LBB4_466:                              ;   in Loop: Header=BB4_380 Depth=3
	s_delay_alu instid0(SALU_CYCLE_1) | instskip(NEXT) | instid1(VALU_DEP_1)
	s_or_b32 exec_lo, exec_lo, s8
	v_dual_mul_f32 v5, v56, v2 :: v_dual_mov_b32 v47, v65
	v_mov_b32_e32 v45, v65
                                        ; implicit-def: $vgpr79
	s_mov_b32 s8, exec_lo
	s_delay_alu instid0(VALU_DEP_2) | instskip(SKIP_2) | instid1(VALU_DEP_3)
	v_and_b32_e32 v46, 0x7f800000, v5
	v_and_b32_e32 v44, 0x7fffff, v5
	v_lshrrev_b32_e32 v2, 24, v5
	v_cmpx_ne_u64_e32 0x7f800000, v[46:47]
	s_xor_b32 s21, exec_lo, s8
	s_cbranch_execz .LBB4_480
; %bb.467:                              ;   in Loop: Header=BB4_380 Depth=3
	v_and_b32_e32 v46, 0x7fffffff, v5
	v_mov_b32_e32 v47, v65
	v_and_b32_e32 v2, 0x80, v2
                                        ; implicit-def: $vgpr79
	s_mov_b32 s8, exec_lo
	s_delay_alu instid0(VALU_DEP_2)
	v_cmpx_gt_u64_e32 0x47600001, v[46:47]
	s_xor_b32 s22, exec_lo, s8
	s_cbranch_execz .LBB4_477
; %bb.468:                              ;   in Loop: Header=BB4_380 Depth=3
	v_mov_b32_e32 v79, 0
	s_mov_b32 s23, exec_lo
	v_cmpx_ne_u32_e32 0, v5
	s_cbranch_execz .LBB4_476
; %bb.469:                              ;   in Loop: Header=BB4_380 Depth=3
	v_bfe_u32 v5, v5, 23, 8
	v_or_b32_e32 v79, 0x800000, v44
	s_delay_alu instid0(VALU_DEP_2) | instskip(SKIP_1) | instid1(VALU_DEP_2)
	v_sub_nc_u32_e32 v46, 0x71, v5
	v_cmp_gt_u32_e32 vcc_lo, 0x72, v5
	v_cndmask_b32_e32 v46, 0, v46, vcc_lo
	v_cmp_eq_u32_e32 vcc_lo, 0, v5
	v_cndmask_b32_e32 v44, v79, v44, vcc_lo
	s_delay_alu instid0(VALU_DEP_3) | instskip(NEXT) | instid1(VALU_DEP_1)
	v_cndmask_b32_e64 v78, v46, 0x70, vcc_lo
	v_dual_add_nc_u32 v46, 21, v78 :: v_dual_add_nc_u32 v88, 20, v78
	s_delay_alu instid0(VALU_DEP_1) | instskip(NEXT) | instid1(VALU_DEP_2)
	v_lshlrev_b64_e64 v[46:47], v46, -1
	v_lshlrev_b64_e64 v[88:89], v88, 1
	s_delay_alu instid0(VALU_DEP_2) | instskip(SKIP_1) | instid1(VALU_DEP_4)
	v_bfi_b32 v46, v46, 0, v44
	v_lshrrev_b64 v[44:45], v78, v[44:45]
	v_bfi_b32 v47, v47, 0, 0
	s_delay_alu instid0(VALU_DEP_1) | instskip(NEXT) | instid1(VALU_DEP_3)
	v_cmp_eq_u64_e64 s8, v[46:47], v[88:89]
	v_mov_b64_e32 v[46:47], v[44:45]
	s_and_saveexec_b32 s24, s8
; %bb.470:                              ;   in Loop: Header=BB4_380 Depth=3
	v_bfe_u32 v46, v44, 21, 1
	v_mov_b32_e32 v47, v65
	s_delay_alu instid0(VALU_DEP_1) | instskip(NEXT) | instid1(VALU_DEP_1)
	v_add_nc_u64_e32 v[46:47], v[44:45], v[46:47]
	v_add_nc_u64_e32 v[46:47], -1, v[46:47]
; %bb.471:                              ;   in Loop: Header=BB4_380 Depth=3
	s_or_b32 exec_lo, exec_lo, s24
	v_add_nc_u32_e32 v5, 0xffffff81, v5
	v_lshrrev_b32_e32 v45, 23, v44
	s_mov_b32 s8, exec_lo
	s_delay_alu instid0(VALU_DEP_2) | instskip(NEXT) | instid1(VALU_DEP_1)
	v_cndmask_b32_e64 v5, v5, 0xffffff82, vcc_lo
	v_add3_u32 v47, v78, v5, v45
	v_and_b32_e32 v5, 0x1fffff, v46
	s_delay_alu instid0(VALU_DEP_2) | instskip(NEXT) | instid1(VALU_DEP_2)
	v_dual_mov_b32 v45, v65 :: v_dual_add_nc_u32 v46, 14, v47
	v_add_nc_u32_e32 v44, v5, v44
                                        ; implicit-def: $vgpr5
	s_delay_alu instid0(VALU_DEP_2)
	v_cmpx_ne_u32_e32 0, v46
	s_xor_b32 s8, exec_lo, s8
; %bb.472:                              ;   in Loop: Header=BB4_380 Depth=3
	s_delay_alu instid0(VALU_DEP_2) | instskip(SKIP_1) | instid1(VALU_DEP_1)
	v_cmp_lt_u64_e32 vcc_lo, 0xffffff, v[44:45]
	v_add_nc_u32_e32 v5, 15, v47
	v_cndmask_b32_e32 v5, v46, v5, vcc_lo
	v_cndmask_b32_e64 v46, 0, 1, vcc_lo
	s_delay_alu instid0(VALU_DEP_1)
	v_lshrrev_b64 v[44:45], v46, v[44:45]
; %bb.473:                              ;   in Loop: Header=BB4_380 Depth=3
	s_and_not1_saveexec_b32 s8, s8
; %bb.474:                              ;   in Loop: Header=BB4_380 Depth=3
	s_delay_alu instid0(VALU_DEP_1)
	v_bfe_u32 v5, v44, 23, 1
; %bb.475:                              ;   in Loop: Header=BB4_380 Depth=3
	s_or_b32 exec_lo, exec_lo, s8
	s_delay_alu instid0(VALU_DEP_2) | instskip(NEXT) | instid1(VALU_DEP_2)
	v_lshrrev_b64 v[44:45], 21, v[44:45]
	v_cmp_gt_i32_e32 vcc_lo, 32, v5
	v_min_i32_e32 v46, 31, v5
	v_cmp_eq_u32_e64 s8, 0, v5
	s_delay_alu instid0(VALU_DEP_2) | instskip(SKIP_1) | instid1(VALU_DEP_2)
	v_dual_cndmask_b32 v44, 3, v44, vcc_lo :: v_dual_lshlrev_b32 v46, 2, v46
	v_cndmask_b32_e32 v45, 0, v45, vcc_lo
	v_and_b32_e32 v46, 0xfc, v46
	s_delay_alu instid0(VALU_DEP_2) | instskip(NEXT) | instid1(VALU_DEP_2)
	v_cmp_eq_u64_e32 vcc_lo, 0, v[44:45]
	v_and_or_b32 v5, v44, 3, v46
	s_and_b32 s8, s8, vcc_lo
	s_delay_alu instid0(VALU_DEP_1) | instid1(SALU_CYCLE_1)
	v_cndmask_b32_e64 v5, v5, 0, s8
	s_delay_alu instid0(VALU_DEP_1)
	v_or_b32_e32 v79, v5, v2
.LBB4_476:                              ;   in Loop: Header=BB4_380 Depth=3
	s_or_b32 exec_lo, exec_lo, s23
                                        ; implicit-def: $vgpr2
.LBB4_477:                              ;   in Loop: Header=BB4_380 Depth=3
	s_and_not1_saveexec_b32 s8, s22
; %bb.478:                              ;   in Loop: Header=BB4_380 Depth=3
	v_or_b32_e32 v79, 0x7b, v2
; %bb.479:                              ;   in Loop: Header=BB4_380 Depth=3
	s_or_b32 exec_lo, exec_lo, s8
                                        ; implicit-def: $vgpr5
                                        ; implicit-def: $vgpr44_vgpr45
                                        ; implicit-def: $vgpr2
.LBB4_480:                              ;   in Loop: Header=BB4_380 Depth=3
	s_and_not1_saveexec_b32 s8, s21
	s_cbranch_execz .LBB4_486
; %bb.481:                              ;   in Loop: Header=BB4_380 Depth=3
	s_mov_b32 s21, exec_lo
                                        ; implicit-def: $vgpr79
	v_cmpx_ne_u64_e32 0, v[44:45]
	s_xor_b32 s21, exec_lo, s21
; %bb.482:                              ;   in Loop: Header=BB4_380 Depth=3
	v_or_b32_e32 v79, 0x7f, v2
                                        ; implicit-def: $vgpr5
; %bb.483:                              ;   in Loop: Header=BB4_380 Depth=3
	s_and_not1_saveexec_b32 s21, s21
; %bb.484:                              ;   in Loop: Header=BB4_380 Depth=3
	v_cmp_lt_i32_e32 vcc_lo, -1, v5
	v_cndmask_b32_e32 v79, 0xfc, v59, vcc_lo
; %bb.485:                              ;   in Loop: Header=BB4_380 Depth=3
	s_or_b32 exec_lo, exec_lo, s21
.LBB4_486:                              ;   in Loop: Header=BB4_380 Depth=3
	s_delay_alu instid0(SALU_CYCLE_1)
	s_or_b32 exec_lo, exec_lo, s8
	v_mov_b32_e32 v44, 0
	s_mov_b32 s8, exec_lo
	v_cmpx_lt_u32_e32 0xffffff, v4
	s_cbranch_execz .LBB4_496
; %bb.487:                              ;   in Loop: Header=BB4_380 Depth=3
	v_lshrrev_b32_e32 v2, 24, v4
	v_bfrev_b32_e32 v44, 1
	s_mov_b32 s21, exec_lo
	s_delay_alu instid0(VALU_DEP_2)
	v_cmpx_ne_u32_e32 0x80, v2
	s_cbranch_execz .LBB4_495
; %bb.488:                              ;   in Loop: Header=BB4_380 Depth=3
	v_and_b32_e32 v5, 0x7c000000, v4
	v_bfe_u32 v45, v4, 24, 2
	s_mov_b32 s22, exec_lo
                                        ; implicit-def: $vgpr44
	s_delay_alu instid0(VALU_DEP_2)
	v_cmpx_ne_u32_e32 0x7c000000, v5
	s_xor_b32 s22, exec_lo, s22
	s_cbranch_execz .LBB4_492
; %bb.489:                              ;   in Loop: Header=BB4_380 Depth=3
	v_bfe_u32 v5, v4, 26, 5
	s_mov_b32 s23, exec_lo
	s_delay_alu instid0(VALU_DEP_1)
	v_cmpx_eq_u32_e32 0, v5
; %bb.490:                              ;   in Loop: Header=BB4_380 Depth=3
	v_clz_i32_u32_e32 v5, v45
	s_delay_alu instid0(VALU_DEP_1) | instskip(NEXT) | instid1(VALU_DEP_1)
	v_min_u32_e32 v5, 32, v5
	v_subrev_nc_u32_e32 v44, 29, v5
	s_delay_alu instid0(VALU_DEP_1) | instskip(NEXT) | instid1(VALU_DEP_1)
	v_lshlrev_b64_e32 v[44:45], v44, v[2:3]
	v_dual_sub_nc_u32 v5, 30, v5 :: v_dual_bitop2_b32 v45, 3, v44 bitop3:0x40
; %bb.491:                              ;   in Loop: Header=BB4_380 Depth=3
	s_or_b32 exec_lo, exec_lo, s23
	v_and_b32_e32 v2, 0x80000000, v4
	s_delay_alu instid0(VALU_DEP_1) | instskip(NEXT) | instid1(VALU_DEP_1)
	v_lshl_add_u32 v2, v5, 23, v2
                                        ; implicit-def: $vgpr4_vgpr5
	v_lshl_or_b32 v2, v45, 21, v2
                                        ; implicit-def: $vgpr45
	s_delay_alu instid0(VALU_DEP_1)
	v_add_nc_u32_e32 v44, 0x38000000, v2
.LBB4_492:                              ;   in Loop: Header=BB4_380 Depth=3
	s_and_not1_saveexec_b32 s22, s22
; %bb.493:                              ;   in Loop: Header=BB4_380 Depth=3
	v_cmp_lt_i32_e32 vcc_lo, -1, v4
	v_cndmask_b32_e32 v2, 0xff800000, v21, vcc_lo
	v_cmp_eq_u32_e32 vcc_lo, 0, v45
	s_delay_alu instid0(VALU_DEP_2)
	v_cndmask_b32_e32 v44, 0x7f800001, v2, vcc_lo
; %bb.494:                              ;   in Loop: Header=BB4_380 Depth=3
	s_or_b32 exec_lo, exec_lo, s22
.LBB4_495:                              ;   in Loop: Header=BB4_380 Depth=3
	s_delay_alu instid0(SALU_CYCLE_1)
	s_or_b32 exec_lo, exec_lo, s21
.LBB4_496:                              ;   in Loop: Header=BB4_380 Depth=3
	s_delay_alu instid0(SALU_CYCLE_1) | instskip(NEXT) | instid1(VALU_DEP_1)
	s_or_b32 exec_lo, exec_lo, s8
	v_dual_mul_f32 v44, v56, v44 :: v_dual_mov_b32 v47, v65
	v_mov_b32_e32 v5, v65
                                        ; implicit-def: $vgpr88
	s_mov_b32 s8, exec_lo
	s_delay_alu instid0(VALU_DEP_2) | instskip(SKIP_2) | instid1(VALU_DEP_3)
	v_and_b32_e32 v46, 0x7f800000, v44
	v_and_b32_e32 v4, 0x7fffff, v44
	v_lshrrev_b32_e32 v2, 24, v44
	v_cmpx_ne_u64_e32 0x7f800000, v[46:47]
	s_xor_b32 s21, exec_lo, s8
	s_cbranch_execz .LBB4_510
; %bb.497:                              ;   in Loop: Header=BB4_380 Depth=3
	v_and_b32_e32 v46, 0x7fffffff, v44
	v_mov_b32_e32 v47, v65
	v_and_b32_e32 v2, 0x80, v2
                                        ; implicit-def: $vgpr88
	s_mov_b32 s8, exec_lo
	s_delay_alu instid0(VALU_DEP_2)
	v_cmpx_gt_u64_e32 0x47600001, v[46:47]
	s_xor_b32 s22, exec_lo, s8
	s_cbranch_execz .LBB4_507
; %bb.498:                              ;   in Loop: Header=BB4_380 Depth=3
	v_mov_b32_e32 v88, 0
	s_mov_b32 s23, exec_lo
	v_cmpx_ne_u32_e32 0, v44
	s_cbranch_execz .LBB4_506
; %bb.499:                              ;   in Loop: Header=BB4_380 Depth=3
	v_bfe_u32 v46, v44, 23, 8
	v_or_b32_e32 v78, 0x800000, v4
	s_delay_alu instid0(VALU_DEP_2) | instskip(SKIP_1) | instid1(VALU_DEP_2)
	v_sub_nc_u32_e32 v44, 0x71, v46
	v_cmp_gt_u32_e32 vcc_lo, 0x72, v46
	v_cndmask_b32_e32 v44, 0, v44, vcc_lo
	v_cmp_eq_u32_e32 vcc_lo, 0, v46
	s_delay_alu instid0(VALU_DEP_2) | instskip(NEXT) | instid1(VALU_DEP_1)
	v_cndmask_b32_e64 v47, v44, 0x70, vcc_lo
	v_dual_cndmask_b32 v4, v78, v4, vcc_lo :: v_dual_add_nc_u32 v44, 21, v47
	v_add_nc_u32_e32 v88, 20, v47
	s_delay_alu instid0(VALU_DEP_2) | instskip(NEXT) | instid1(VALU_DEP_2)
	v_lshlrev_b64_e64 v[44:45], v44, -1
	v_lshlrev_b64_e64 v[88:89], v88, 1
	s_delay_alu instid0(VALU_DEP_2) | instskip(SKIP_1) | instid1(VALU_DEP_4)
	v_bfi_b32 v44, v44, 0, v4
	v_lshrrev_b64 v[4:5], v47, v[4:5]
	v_bfi_b32 v45, v45, 0, 0
	s_delay_alu instid0(VALU_DEP_1) | instskip(NEXT) | instid1(VALU_DEP_3)
	v_cmp_eq_u64_e64 s8, v[44:45], v[88:89]
	v_mov_b64_e32 v[44:45], v[4:5]
	s_and_saveexec_b32 s24, s8
; %bb.500:                              ;   in Loop: Header=BB4_380 Depth=3
	v_bfe_u32 v44, v4, 21, 1
	v_mov_b32_e32 v45, v65
	s_delay_alu instid0(VALU_DEP_1) | instskip(NEXT) | instid1(VALU_DEP_1)
	v_add_nc_u64_e32 v[44:45], v[4:5], v[44:45]
	v_add_nc_u64_e32 v[44:45], -1, v[44:45]
; %bb.501:                              ;   in Loop: Header=BB4_380 Depth=3
	s_or_b32 exec_lo, exec_lo, s24
	v_add_nc_u32_e32 v5, 0xffffff81, v46
	v_lshrrev_b32_e32 v45, 23, v4
	s_mov_b32 s8, exec_lo
	s_delay_alu instid0(VALU_DEP_2) | instskip(NEXT) | instid1(VALU_DEP_1)
	v_cndmask_b32_e64 v5, v5, 0xffffff82, vcc_lo
	v_add3_u32 v45, v47, v5, v45
	v_and_b32_e32 v5, 0x1fffff, v44
                                        ; implicit-def: $vgpr44
	s_delay_alu instid0(VALU_DEP_1) | instskip(SKIP_1) | instid1(VALU_DEP_2)
	v_dual_add_nc_u32 v46, 14, v45 :: v_dual_add_nc_u32 v4, v5, v4
	v_mov_b32_e32 v5, v65
	v_cmpx_ne_u32_e32 0, v46
	s_xor_b32 s8, exec_lo, s8
; %bb.502:                              ;   in Loop: Header=BB4_380 Depth=3
	s_delay_alu instid0(VALU_DEP_2) | instskip(SKIP_2) | instid1(VALU_DEP_2)
	v_cmp_lt_u64_e32 vcc_lo, 0xffffff, v[4:5]
	v_add_nc_u32_e32 v44, 15, v45
	v_cndmask_b32_e64 v45, 0, 1, vcc_lo
	v_cndmask_b32_e32 v44, v46, v44, vcc_lo
	s_delay_alu instid0(VALU_DEP_2)
	v_lshrrev_b64 v[4:5], v45, v[4:5]
; %bb.503:                              ;   in Loop: Header=BB4_380 Depth=3
	s_and_not1_saveexec_b32 s8, s8
; %bb.504:                              ;   in Loop: Header=BB4_380 Depth=3
	s_delay_alu instid0(VALU_DEP_1)
	v_bfe_u32 v44, v4, 23, 1
; %bb.505:                              ;   in Loop: Header=BB4_380 Depth=3
	s_or_b32 exec_lo, exec_lo, s8
	s_delay_alu instid0(VALU_DEP_2) | instskip(NEXT) | instid1(VALU_DEP_2)
	v_lshrrev_b64 v[4:5], 21, v[4:5]
	v_cmp_gt_i32_e32 vcc_lo, 32, v44
	v_min_i32_e32 v45, 31, v44
	v_cmp_eq_u32_e64 s8, 0, v44
	s_delay_alu instid0(VALU_DEP_4) | instskip(NEXT) | instid1(VALU_DEP_3)
	v_cndmask_b32_e32 v5, 0, v5, vcc_lo
	v_dual_cndmask_b32 v4, 3, v4 :: v_dual_lshlrev_b32 v45, 2, v45
	s_delay_alu instid0(VALU_DEP_1) | instskip(NEXT) | instid1(VALU_DEP_2)
	v_and_b32_e32 v45, 0xfc, v45
	v_cmp_eq_u64_e32 vcc_lo, 0, v[4:5]
	s_delay_alu instid0(VALU_DEP_2)
	v_and_or_b32 v4, v4, 3, v45
	s_and_b32 s8, s8, vcc_lo
	s_delay_alu instid0(VALU_DEP_1) | instid1(SALU_CYCLE_1)
	v_cndmask_b32_e64 v4, v4, 0, s8
	s_delay_alu instid0(VALU_DEP_1)
	v_or_b32_e32 v88, v4, v2
.LBB4_506:                              ;   in Loop: Header=BB4_380 Depth=3
	s_or_b32 exec_lo, exec_lo, s23
                                        ; implicit-def: $vgpr2
.LBB4_507:                              ;   in Loop: Header=BB4_380 Depth=3
	s_and_not1_saveexec_b32 s8, s22
; %bb.508:                              ;   in Loop: Header=BB4_380 Depth=3
	v_or_b32_e32 v88, 0x7b, v2
; %bb.509:                              ;   in Loop: Header=BB4_380 Depth=3
	s_or_b32 exec_lo, exec_lo, s8
                                        ; implicit-def: $vgpr44
                                        ; implicit-def: $vgpr4_vgpr5
                                        ; implicit-def: $vgpr2
.LBB4_510:                              ;   in Loop: Header=BB4_380 Depth=3
	s_and_not1_saveexec_b32 s8, s21
	s_cbranch_execz .LBB4_516
; %bb.511:                              ;   in Loop: Header=BB4_380 Depth=3
	s_mov_b32 s21, exec_lo
                                        ; implicit-def: $vgpr88
	v_cmpx_ne_u64_e32 0, v[4:5]
	s_xor_b32 s21, exec_lo, s21
; %bb.512:                              ;   in Loop: Header=BB4_380 Depth=3
	v_or_b32_e32 v88, 0x7f, v2
                                        ; implicit-def: $vgpr44
; %bb.513:                              ;   in Loop: Header=BB4_380 Depth=3
	s_and_not1_saveexec_b32 s21, s21
; %bb.514:                              ;   in Loop: Header=BB4_380 Depth=3
	v_cmp_lt_i32_e32 vcc_lo, -1, v44
	v_cndmask_b32_e32 v88, 0xfc, v59, vcc_lo
; %bb.515:                              ;   in Loop: Header=BB4_380 Depth=3
	s_or_b32 exec_lo, exec_lo, s21
.LBB4_516:                              ;   in Loop: Header=BB4_380 Depth=3
	s_delay_alu instid0(SALU_CYCLE_1) | instskip(SKIP_2) | instid1(VALU_DEP_2)
	s_or_b32 exec_lo, exec_lo, s8
	v_alignbit_b32 v4, v74, v76, v77
	v_mov_b32_e32 v5, v65
	v_and_b32_e32 v2, 0xff, v4
	s_delay_alu instid0(VALU_DEP_1)
	v_cmp_ne_u16_e32 vcc_lo, 0, v2
	v_mov_b32_e32 v2, 0
	s_and_saveexec_b32 s8, vcc_lo
	s_cbranch_execz .LBB4_526
; %bb.517:                              ;   in Loop: Header=BB4_380 Depth=3
	v_bfe_i32 v45, v4, 0, 8
	v_bfrev_b32_e32 v2, 1
	s_mov_b32 s21, exec_lo
	s_delay_alu instid0(VALU_DEP_2)
	v_cmpx_ne_u16_e32 0xff80, v45
	s_cbranch_execz .LBB4_525
; %bb.518:                              ;   in Loop: Header=BB4_380 Depth=3
	v_and_b32_e32 v2, 0x7c, v4
	v_and_b32_e32 v44, 3, v4
	s_delay_alu instid0(VALU_DEP_2) | instskip(SKIP_1) | instid1(SALU_CYCLE_1)
	v_cmp_ne_u32_e32 vcc_lo, 0x7c, v2
                                        ; implicit-def: $vgpr2
	s_and_saveexec_b32 s22, vcc_lo
	s_xor_b32 s22, exec_lo, s22
	s_cbranch_execz .LBB4_522
; %bb.519:                              ;   in Loop: Header=BB4_380 Depth=3
	v_bfe_u32 v2, v4, 2, 5
	s_mov_b32 s23, exec_lo
	s_delay_alu instid0(VALU_DEP_1)
	v_cmpx_eq_u32_e32 0, v2
; %bb.520:                              ;   in Loop: Header=BB4_380 Depth=3
	v_clz_i32_u32_e32 v2, v44
	s_delay_alu instid0(VALU_DEP_1) | instskip(NEXT) | instid1(VALU_DEP_1)
	v_min_u32_e32 v2, 32, v2
	v_subrev_nc_u32_e32 v44, 29, v2
	s_delay_alu instid0(VALU_DEP_1) | instskip(NEXT) | instid1(VALU_DEP_1)
	v_lshlrev_b64_e32 v[44:45], v44, v[4:5]
	v_dual_sub_nc_u32 v2, 30, v2 :: v_dual_bitop2_b32 v44, 3, v44 bitop3:0x40
; %bb.521:                              ;   in Loop: Header=BB4_380 Depth=3
	s_or_b32 exec_lo, exec_lo, s23
	v_lshlrev_b32_e32 v5, 24, v4
                                        ; implicit-def: $vgpr45
	s_delay_alu instid0(VALU_DEP_1) | instskip(NEXT) | instid1(VALU_DEP_1)
	v_and_b32_e32 v5, 0x80000000, v5
	v_lshl_add_u32 v2, v2, 23, v5
	s_delay_alu instid0(VALU_DEP_1) | instskip(NEXT) | instid1(VALU_DEP_1)
	v_lshl_or_b32 v2, v44, 21, v2
                                        ; implicit-def: $vgpr44
	v_add_nc_u32_e32 v2, 0x38000000, v2
.LBB4_522:                              ;   in Loop: Header=BB4_380 Depth=3
	s_and_not1_saveexec_b32 s22, s22
; %bb.523:                              ;   in Loop: Header=BB4_380 Depth=3
	v_cmp_lt_i16_e32 vcc_lo, -1, v45
	v_cndmask_b32_e32 v2, 0xff800000, v21, vcc_lo
	v_cmp_eq_u32_e32 vcc_lo, 0, v44
	s_delay_alu instid0(VALU_DEP_2)
	v_cndmask_b32_e32 v2, 0x7f800001, v2, vcc_lo
; %bb.524:                              ;   in Loop: Header=BB4_380 Depth=3
	s_or_b32 exec_lo, exec_lo, s22
.LBB4_525:                              ;   in Loop: Header=BB4_380 Depth=3
	s_delay_alu instid0(SALU_CYCLE_1)
	s_or_b32 exec_lo, exec_lo, s21
.LBB4_526:                              ;   in Loop: Header=BB4_380 Depth=3
	s_delay_alu instid0(SALU_CYCLE_1) | instskip(NEXT) | instid1(VALU_DEP_1)
	s_or_b32 exec_lo, exec_lo, s8
	v_dual_mul_f32 v5, v56, v2 :: v_dual_mov_b32 v47, v65
	v_mov_b32_e32 v45, v65
                                        ; implicit-def: $vgpr74
	s_mov_b32 s8, exec_lo
	s_delay_alu instid0(VALU_DEP_2) | instskip(SKIP_2) | instid1(VALU_DEP_3)
	v_and_b32_e32 v46, 0x7f800000, v5
	v_and_b32_e32 v44, 0x7fffff, v5
	v_lshrrev_b32_e32 v2, 24, v5
	v_cmpx_ne_u64_e32 0x7f800000, v[46:47]
	s_xor_b32 s21, exec_lo, s8
	s_cbranch_execz .LBB4_540
; %bb.527:                              ;   in Loop: Header=BB4_380 Depth=3
	v_and_b32_e32 v46, 0x7fffffff, v5
	v_mov_b32_e32 v47, v65
	v_and_b32_e32 v2, 0x80, v2
                                        ; implicit-def: $vgpr74
	s_mov_b32 s8, exec_lo
	s_delay_alu instid0(VALU_DEP_2)
	v_cmpx_gt_u64_e32 0x47600001, v[46:47]
	s_xor_b32 s22, exec_lo, s8
	s_cbranch_execz .LBB4_537
; %bb.528:                              ;   in Loop: Header=BB4_380 Depth=3
	v_mov_b32_e32 v74, 0
	s_mov_b32 s23, exec_lo
	v_cmpx_ne_u32_e32 0, v5
	s_cbranch_execz .LBB4_536
; %bb.529:                              ;   in Loop: Header=BB4_380 Depth=3
	v_bfe_u32 v5, v5, 23, 8
	v_or_b32_e32 v76, 0x800000, v44
	s_delay_alu instid0(VALU_DEP_2) | instskip(SKIP_1) | instid1(VALU_DEP_2)
	v_sub_nc_u32_e32 v46, 0x71, v5
	v_cmp_gt_u32_e32 vcc_lo, 0x72, v5
	v_cndmask_b32_e32 v46, 0, v46, vcc_lo
	v_cmp_eq_u32_e32 vcc_lo, 0, v5
	v_cndmask_b32_e32 v44, v76, v44, vcc_lo
	s_delay_alu instid0(VALU_DEP_3) | instskip(NEXT) | instid1(VALU_DEP_1)
	v_cndmask_b32_e64 v74, v46, 0x70, vcc_lo
	v_dual_add_nc_u32 v46, 21, v74 :: v_dual_add_nc_u32 v77, 20, v74
	s_delay_alu instid0(VALU_DEP_1) | instskip(NEXT) | instid1(VALU_DEP_2)
	v_lshlrev_b64_e64 v[46:47], v46, -1
	v_lshlrev_b64_e64 v[76:77], v77, 1
	s_delay_alu instid0(VALU_DEP_2) | instskip(SKIP_1) | instid1(VALU_DEP_4)
	v_bfi_b32 v46, v46, 0, v44
	v_lshrrev_b64 v[44:45], v74, v[44:45]
	v_bfi_b32 v47, v47, 0, 0
	s_delay_alu instid0(VALU_DEP_1) | instskip(NEXT) | instid1(VALU_DEP_3)
	v_cmp_eq_u64_e64 s8, v[46:47], v[76:77]
	v_mov_b64_e32 v[46:47], v[44:45]
	s_and_saveexec_b32 s24, s8
; %bb.530:                              ;   in Loop: Header=BB4_380 Depth=3
	v_bfe_u32 v46, v44, 21, 1
	v_mov_b32_e32 v47, v65
	s_delay_alu instid0(VALU_DEP_1) | instskip(NEXT) | instid1(VALU_DEP_1)
	v_add_nc_u64_e32 v[46:47], v[44:45], v[46:47]
	v_add_nc_u64_e32 v[46:47], -1, v[46:47]
; %bb.531:                              ;   in Loop: Header=BB4_380 Depth=3
	s_or_b32 exec_lo, exec_lo, s24
	v_add_nc_u32_e32 v5, 0xffffff81, v5
	v_lshrrev_b32_e32 v45, 23, v44
	s_mov_b32 s8, exec_lo
	s_delay_alu instid0(VALU_DEP_2) | instskip(NEXT) | instid1(VALU_DEP_1)
	v_cndmask_b32_e64 v5, v5, 0xffffff82, vcc_lo
	v_add3_u32 v47, v74, v5, v45
	v_and_b32_e32 v5, 0x1fffff, v46
	s_delay_alu instid0(VALU_DEP_2) | instskip(NEXT) | instid1(VALU_DEP_2)
	v_dual_mov_b32 v45, v65 :: v_dual_add_nc_u32 v46, 14, v47
	v_add_nc_u32_e32 v44, v5, v44
                                        ; implicit-def: $vgpr5
	s_delay_alu instid0(VALU_DEP_2)
	v_cmpx_ne_u32_e32 0, v46
	s_xor_b32 s8, exec_lo, s8
; %bb.532:                              ;   in Loop: Header=BB4_380 Depth=3
	s_delay_alu instid0(VALU_DEP_2) | instskip(SKIP_1) | instid1(VALU_DEP_1)
	v_cmp_lt_u64_e32 vcc_lo, 0xffffff, v[44:45]
	v_add_nc_u32_e32 v5, 15, v47
	v_cndmask_b32_e32 v5, v46, v5, vcc_lo
	v_cndmask_b32_e64 v46, 0, 1, vcc_lo
	s_delay_alu instid0(VALU_DEP_1)
	v_lshrrev_b64 v[44:45], v46, v[44:45]
; %bb.533:                              ;   in Loop: Header=BB4_380 Depth=3
	s_and_not1_saveexec_b32 s8, s8
; %bb.534:                              ;   in Loop: Header=BB4_380 Depth=3
	s_delay_alu instid0(VALU_DEP_1)
	v_bfe_u32 v5, v44, 23, 1
; %bb.535:                              ;   in Loop: Header=BB4_380 Depth=3
	s_or_b32 exec_lo, exec_lo, s8
	s_delay_alu instid0(VALU_DEP_2) | instskip(NEXT) | instid1(VALU_DEP_2)
	v_lshrrev_b64 v[44:45], 21, v[44:45]
	v_cmp_gt_i32_e32 vcc_lo, 32, v5
	v_min_i32_e32 v46, 31, v5
	v_cmp_eq_u32_e64 s8, 0, v5
	s_delay_alu instid0(VALU_DEP_2) | instskip(SKIP_1) | instid1(VALU_DEP_2)
	v_dual_cndmask_b32 v44, 3, v44, vcc_lo :: v_dual_lshlrev_b32 v46, 2, v46
	v_cndmask_b32_e32 v45, 0, v45, vcc_lo
	v_and_b32_e32 v46, 0xfc, v46
	s_delay_alu instid0(VALU_DEP_2) | instskip(NEXT) | instid1(VALU_DEP_2)
	v_cmp_eq_u64_e32 vcc_lo, 0, v[44:45]
	v_and_or_b32 v5, v44, 3, v46
	s_and_b32 s8, s8, vcc_lo
	s_delay_alu instid0(VALU_DEP_1) | instid1(SALU_CYCLE_1)
	v_cndmask_b32_e64 v5, v5, 0, s8
	s_delay_alu instid0(VALU_DEP_1)
	v_or_b32_e32 v74, v5, v2
.LBB4_536:                              ;   in Loop: Header=BB4_380 Depth=3
	s_or_b32 exec_lo, exec_lo, s23
                                        ; implicit-def: $vgpr2
.LBB4_537:                              ;   in Loop: Header=BB4_380 Depth=3
	s_and_not1_saveexec_b32 s8, s22
; %bb.538:                              ;   in Loop: Header=BB4_380 Depth=3
	v_or_b32_e32 v74, 0x7b, v2
; %bb.539:                              ;   in Loop: Header=BB4_380 Depth=3
	s_or_b32 exec_lo, exec_lo, s8
                                        ; implicit-def: $vgpr5
                                        ; implicit-def: $vgpr44_vgpr45
                                        ; implicit-def: $vgpr2
.LBB4_540:                              ;   in Loop: Header=BB4_380 Depth=3
	s_and_not1_saveexec_b32 s8, s21
	s_cbranch_execz .LBB4_546
; %bb.541:                              ;   in Loop: Header=BB4_380 Depth=3
	s_mov_b32 s21, exec_lo
                                        ; implicit-def: $vgpr74
	v_cmpx_ne_u64_e32 0, v[44:45]
	s_xor_b32 s21, exec_lo, s21
; %bb.542:                              ;   in Loop: Header=BB4_380 Depth=3
	v_or_b32_e32 v74, 0x7f, v2
                                        ; implicit-def: $vgpr5
; %bb.543:                              ;   in Loop: Header=BB4_380 Depth=3
	s_and_not1_saveexec_b32 s21, s21
; %bb.544:                              ;   in Loop: Header=BB4_380 Depth=3
	v_cmp_lt_i32_e32 vcc_lo, -1, v5
	v_cndmask_b32_e32 v74, 0xfc, v59, vcc_lo
; %bb.545:                              ;   in Loop: Header=BB4_380 Depth=3
	s_or_b32 exec_lo, exec_lo, s21
.LBB4_546:                              ;   in Loop: Header=BB4_380 Depth=3
	s_delay_alu instid0(SALU_CYCLE_1) | instskip(SKIP_3) | instid1(VALU_DEP_2)
	s_or_b32 exec_lo, exec_lo, s8
	v_lshrrev_b16 v44, 8, v4
	v_mov_b32_e32 v5, 0
	s_mov_b32 s8, exec_lo
	v_cmpx_ne_u16_e32 0, v44
	s_cbranch_execz .LBB4_556
; %bb.547:                              ;   in Loop: Header=BB4_380 Depth=3
	v_bfrev_b32_e32 v5, 1
	s_mov_b32 s21, exec_lo
	v_cmpx_ne_u16_e32 0x80, v44
	s_cbranch_execz .LBB4_555
; %bb.548:                              ;   in Loop: Header=BB4_380 Depth=3
	v_and_b32_e32 v45, 0xffff, v44
	s_delay_alu instid0(VALU_DEP_1) | instskip(SKIP_1) | instid1(VALU_DEP_2)
	v_and_b32_e32 v5, 0x7c, v45
	v_and_b32_e32 v2, 3, v45
	v_cmp_ne_u32_e32 vcc_lo, 0x7c, v5
                                        ; implicit-def: $vgpr5
	s_and_saveexec_b32 s22, vcc_lo
	s_delay_alu instid0(SALU_CYCLE_1)
	s_xor_b32 s22, exec_lo, s22
	s_cbranch_execz .LBB4_552
; %bb.549:                              ;   in Loop: Header=BB4_380 Depth=3
	v_bfe_u32 v5, v45, 2, 5
	s_mov_b32 s23, exec_lo
	s_delay_alu instid0(VALU_DEP_1)
	v_cmpx_eq_u32_e32 0, v5
; %bb.550:                              ;   in Loop: Header=BB4_380 Depth=3
	v_clz_i32_u32_e32 v2, v2
	s_delay_alu instid0(VALU_DEP_1) | instskip(SKIP_1) | instid1(VALU_DEP_2)
	v_min_u32_e32 v2, 32, v2
	v_mov_b32_e32 v45, v65
	v_subrev_nc_u32_e32 v5, 29, v2
	s_delay_alu instid0(VALU_DEP_1) | instskip(NEXT) | instid1(VALU_DEP_1)
	v_lshlrev_b64_e32 v[44:45], v5, v[44:45]
	v_dual_sub_nc_u32 v5, 30, v2 :: v_dual_bitop2_b32 v2, 3, v44 bitop3:0x40
; %bb.551:                              ;   in Loop: Header=BB4_380 Depth=3
	s_or_b32 exec_lo, exec_lo, s23
	v_lshlrev_b32_e32 v44, 16, v4
	s_delay_alu instid0(VALU_DEP_1) | instskip(NEXT) | instid1(VALU_DEP_1)
	v_and_b32_e32 v44, 0x80000000, v44
	v_lshl_add_u32 v5, v5, 23, v44
	s_delay_alu instid0(VALU_DEP_1) | instskip(NEXT) | instid1(VALU_DEP_1)
	v_lshl_or_b32 v2, v2, 21, v5
	v_add_nc_u32_e32 v5, 0x38000000, v2
                                        ; implicit-def: $vgpr2
.LBB4_552:                              ;   in Loop: Header=BB4_380 Depth=3
	s_and_not1_saveexec_b32 s22, s22
; %bb.553:                              ;   in Loop: Header=BB4_380 Depth=3
	v_cmp_lt_i16_e32 vcc_lo, -1, v4
	v_cndmask_b32_e32 v5, 0xff800000, v21, vcc_lo
	v_cmp_eq_u32_e32 vcc_lo, 0, v2
	s_delay_alu instid0(VALU_DEP_2)
	v_cndmask_b32_e32 v5, 0x7f800001, v5, vcc_lo
; %bb.554:                              ;   in Loop: Header=BB4_380 Depth=3
	s_or_b32 exec_lo, exec_lo, s22
.LBB4_555:                              ;   in Loop: Header=BB4_380 Depth=3
	s_delay_alu instid0(SALU_CYCLE_1)
	s_or_b32 exec_lo, exec_lo, s21
.LBB4_556:                              ;   in Loop: Header=BB4_380 Depth=3
	s_delay_alu instid0(SALU_CYCLE_1) | instskip(NEXT) | instid1(VALU_DEP_1)
	s_or_b32 exec_lo, exec_lo, s8
	v_dual_mul_f32 v5, v56, v5 :: v_dual_mov_b32 v47, v65
	v_mov_b32_e32 v45, v65
                                        ; implicit-def: $vgpr76
	s_mov_b32 s8, exec_lo
	s_delay_alu instid0(VALU_DEP_2) | instskip(SKIP_2) | instid1(VALU_DEP_3)
	v_and_b32_e32 v46, 0x7f800000, v5
	v_and_b32_e32 v44, 0x7fffff, v5
	v_lshrrev_b32_e32 v2, 24, v5
	v_cmpx_ne_u64_e32 0x7f800000, v[46:47]
	s_xor_b32 s21, exec_lo, s8
	s_cbranch_execz .LBB4_570
; %bb.557:                              ;   in Loop: Header=BB4_380 Depth=3
	v_and_b32_e32 v46, 0x7fffffff, v5
	v_mov_b32_e32 v47, v65
	v_and_b32_e32 v2, 0x80, v2
                                        ; implicit-def: $vgpr76
	s_mov_b32 s8, exec_lo
	s_delay_alu instid0(VALU_DEP_2)
	v_cmpx_gt_u64_e32 0x47600001, v[46:47]
	s_xor_b32 s22, exec_lo, s8
	s_cbranch_execz .LBB4_567
; %bb.558:                              ;   in Loop: Header=BB4_380 Depth=3
	v_mov_b32_e32 v76, 0
	s_mov_b32 s23, exec_lo
	v_cmpx_ne_u32_e32 0, v5
	s_cbranch_execz .LBB4_566
; %bb.559:                              ;   in Loop: Header=BB4_380 Depth=3
	v_bfe_u32 v5, v5, 23, 8
	v_or_b32_e32 v77, 0x800000, v44
	s_delay_alu instid0(VALU_DEP_2) | instskip(SKIP_1) | instid1(VALU_DEP_2)
	v_sub_nc_u32_e32 v46, 0x71, v5
	v_cmp_gt_u32_e32 vcc_lo, 0x72, v5
	v_cndmask_b32_e32 v46, 0, v46, vcc_lo
	v_cmp_eq_u32_e32 vcc_lo, 0, v5
	s_delay_alu instid0(VALU_DEP_2) | instskip(SKIP_1) | instid1(VALU_DEP_2)
	v_cndmask_b32_e64 v76, v46, 0x70, vcc_lo
	v_cndmask_b32_e32 v44, v77, v44, vcc_lo
	v_dual_add_nc_u32 v46, 21, v76 :: v_dual_add_nc_u32 v78, 20, v76
	s_delay_alu instid0(VALU_DEP_1) | instskip(NEXT) | instid1(VALU_DEP_2)
	v_lshlrev_b64_e64 v[46:47], v46, -1
	v_lshlrev_b64_e64 v[90:91], v78, 1
	s_delay_alu instid0(VALU_DEP_2) | instskip(SKIP_1) | instid1(VALU_DEP_4)
	v_bfi_b32 v46, v46, 0, v44
	v_lshrrev_b64 v[44:45], v76, v[44:45]
	v_bfi_b32 v47, v47, 0, 0
	s_delay_alu instid0(VALU_DEP_1) | instskip(NEXT) | instid1(VALU_DEP_3)
	v_cmp_eq_u64_e64 s8, v[46:47], v[90:91]
	v_mov_b64_e32 v[46:47], v[44:45]
	s_and_saveexec_b32 s24, s8
; %bb.560:                              ;   in Loop: Header=BB4_380 Depth=3
	v_bfe_u32 v46, v44, 21, 1
	v_mov_b32_e32 v47, v65
	s_delay_alu instid0(VALU_DEP_1) | instskip(NEXT) | instid1(VALU_DEP_1)
	v_add_nc_u64_e32 v[46:47], v[44:45], v[46:47]
	v_add_nc_u64_e32 v[46:47], -1, v[46:47]
; %bb.561:                              ;   in Loop: Header=BB4_380 Depth=3
	s_or_b32 exec_lo, exec_lo, s24
	v_add_nc_u32_e32 v5, 0xffffff81, v5
	v_lshrrev_b32_e32 v45, 23, v44
	s_mov_b32 s8, exec_lo
	s_delay_alu instid0(VALU_DEP_2) | instskip(NEXT) | instid1(VALU_DEP_1)
	v_cndmask_b32_e64 v5, v5, 0xffffff82, vcc_lo
	v_add3_u32 v47, v76, v5, v45
	v_and_b32_e32 v5, 0x1fffff, v46
	s_delay_alu instid0(VALU_DEP_2) | instskip(NEXT) | instid1(VALU_DEP_2)
	v_dual_mov_b32 v45, v65 :: v_dual_add_nc_u32 v46, 14, v47
	v_add_nc_u32_e32 v44, v5, v44
                                        ; implicit-def: $vgpr5
	s_delay_alu instid0(VALU_DEP_2)
	v_cmpx_ne_u32_e32 0, v46
	s_xor_b32 s8, exec_lo, s8
; %bb.562:                              ;   in Loop: Header=BB4_380 Depth=3
	s_delay_alu instid0(VALU_DEP_2) | instskip(SKIP_1) | instid1(VALU_DEP_1)
	v_cmp_lt_u64_e32 vcc_lo, 0xffffff, v[44:45]
	v_add_nc_u32_e32 v5, 15, v47
	v_cndmask_b32_e32 v5, v46, v5, vcc_lo
	v_cndmask_b32_e64 v46, 0, 1, vcc_lo
	s_delay_alu instid0(VALU_DEP_1)
	v_lshrrev_b64 v[44:45], v46, v[44:45]
; %bb.563:                              ;   in Loop: Header=BB4_380 Depth=3
	s_and_not1_saveexec_b32 s8, s8
; %bb.564:                              ;   in Loop: Header=BB4_380 Depth=3
	s_delay_alu instid0(VALU_DEP_1)
	v_bfe_u32 v5, v44, 23, 1
; %bb.565:                              ;   in Loop: Header=BB4_380 Depth=3
	s_or_b32 exec_lo, exec_lo, s8
	s_delay_alu instid0(VALU_DEP_2) | instskip(NEXT) | instid1(VALU_DEP_2)
	v_lshrrev_b64 v[44:45], 21, v[44:45]
	v_cmp_gt_i32_e32 vcc_lo, 32, v5
	v_min_i32_e32 v46, 31, v5
	v_cmp_eq_u32_e64 s8, 0, v5
	s_delay_alu instid0(VALU_DEP_2) | instskip(SKIP_1) | instid1(VALU_DEP_2)
	v_dual_cndmask_b32 v44, 3, v44, vcc_lo :: v_dual_lshlrev_b32 v46, 2, v46
	v_cndmask_b32_e32 v45, 0, v45, vcc_lo
	v_and_b32_e32 v46, 0xfc, v46
	s_delay_alu instid0(VALU_DEP_2) | instskip(NEXT) | instid1(VALU_DEP_2)
	v_cmp_eq_u64_e32 vcc_lo, 0, v[44:45]
	v_and_or_b32 v5, v44, 3, v46
	s_and_b32 s8, s8, vcc_lo
	s_delay_alu instid0(VALU_DEP_1) | instid1(SALU_CYCLE_1)
	v_cndmask_b32_e64 v5, v5, 0, s8
	s_delay_alu instid0(VALU_DEP_1)
	v_or_b32_e32 v76, v5, v2
.LBB4_566:                              ;   in Loop: Header=BB4_380 Depth=3
	s_or_b32 exec_lo, exec_lo, s23
                                        ; implicit-def: $vgpr2
.LBB4_567:                              ;   in Loop: Header=BB4_380 Depth=3
	s_and_not1_saveexec_b32 s8, s22
; %bb.568:                              ;   in Loop: Header=BB4_380 Depth=3
	v_or_b32_e32 v76, 0x7b, v2
; %bb.569:                              ;   in Loop: Header=BB4_380 Depth=3
	s_or_b32 exec_lo, exec_lo, s8
                                        ; implicit-def: $vgpr5
                                        ; implicit-def: $vgpr44_vgpr45
                                        ; implicit-def: $vgpr2
.LBB4_570:                              ;   in Loop: Header=BB4_380 Depth=3
	s_and_not1_saveexec_b32 s8, s21
	s_cbranch_execz .LBB4_576
; %bb.571:                              ;   in Loop: Header=BB4_380 Depth=3
	s_mov_b32 s21, exec_lo
                                        ; implicit-def: $vgpr76
	v_cmpx_ne_u64_e32 0, v[44:45]
	s_xor_b32 s21, exec_lo, s21
; %bb.572:                              ;   in Loop: Header=BB4_380 Depth=3
	v_or_b32_e32 v76, 0x7f, v2
                                        ; implicit-def: $vgpr5
; %bb.573:                              ;   in Loop: Header=BB4_380 Depth=3
	s_and_not1_saveexec_b32 s21, s21
; %bb.574:                              ;   in Loop: Header=BB4_380 Depth=3
	v_cmp_lt_i32_e32 vcc_lo, -1, v5
	v_cndmask_b32_e32 v76, 0xfc, v59, vcc_lo
; %bb.575:                              ;   in Loop: Header=BB4_380 Depth=3
	s_or_b32 exec_lo, exec_lo, s21
.LBB4_576:                              ;   in Loop: Header=BB4_380 Depth=3
	s_delay_alu instid0(SALU_CYCLE_1) | instskip(SKIP_2) | instid1(VALU_DEP_1)
	s_or_b32 exec_lo, exec_lo, s8
	v_dual_mov_b32 v5, 0 :: v_dual_lshrrev_b32 v2, 16, v4
	s_mov_b32 s8, exec_lo
	v_and_b32_e32 v44, 0xff, v2
	s_delay_alu instid0(VALU_DEP_1)
	v_cmpx_ne_u16_e32 0, v44
	s_cbranch_execz .LBB4_586
; %bb.577:                              ;   in Loop: Header=BB4_380 Depth=3
	v_bfrev_b32_e32 v5, 1
	s_mov_b32 s21, exec_lo
	v_cmpx_ne_u16_e32 0x80, v44
	s_cbranch_execz .LBB4_585
; %bb.578:                              ;   in Loop: Header=BB4_380 Depth=3
	v_and_b32_e32 v5, 0x7c0000, v4
	v_bfe_u32 v44, v4, 16, 2
	s_delay_alu instid0(VALU_DEP_2) | instskip(SKIP_1) | instid1(SALU_CYCLE_1)
	v_cmp_ne_u32_e32 vcc_lo, 0x7c0000, v5
                                        ; implicit-def: $vgpr5
	s_and_saveexec_b32 s22, vcc_lo
	s_xor_b32 s22, exec_lo, s22
	s_cbranch_execz .LBB4_582
; %bb.579:                              ;   in Loop: Header=BB4_380 Depth=3
	v_bfe_u32 v5, v4, 18, 5
	s_mov_b32 s23, exec_lo
	s_delay_alu instid0(VALU_DEP_1)
	v_cmpx_eq_u32_e32 0, v5
; %bb.580:                              ;   in Loop: Header=BB4_380 Depth=3
	v_clz_i32_u32_e32 v5, v44
	s_delay_alu instid0(VALU_DEP_1) | instskip(NEXT) | instid1(VALU_DEP_1)
	v_min_u32_e32 v5, 32, v5
	v_subrev_nc_u32_e32 v44, 29, v5
	s_delay_alu instid0(VALU_DEP_1) | instskip(NEXT) | instid1(VALU_DEP_1)
	v_lshlrev_b64_e32 v[44:45], v44, v[2:3]
	v_dual_sub_nc_u32 v5, 30, v5 :: v_dual_bitop2_b32 v44, 3, v44 bitop3:0x40
; %bb.581:                              ;   in Loop: Header=BB4_380 Depth=3
	s_or_b32 exec_lo, exec_lo, s23
	v_lshlrev_b32_e32 v2, 24, v2
	s_delay_alu instid0(VALU_DEP_1) | instskip(NEXT) | instid1(VALU_DEP_1)
	v_and_b32_e32 v2, 0x80000000, v2
	v_lshl_add_u32 v2, v5, 23, v2
	s_delay_alu instid0(VALU_DEP_1) | instskip(NEXT) | instid1(VALU_DEP_1)
	v_lshl_or_b32 v2, v44, 21, v2
                                        ; implicit-def: $vgpr44
	v_add_nc_u32_e32 v5, 0x38000000, v2
                                        ; implicit-def: $vgpr2
.LBB4_582:                              ;   in Loop: Header=BB4_380 Depth=3
	s_and_not1_saveexec_b32 s22, s22
; %bb.583:                              ;   in Loop: Header=BB4_380 Depth=3
	v_bfe_i32 v2, v2, 0, 8
	s_delay_alu instid0(VALU_DEP_1) | instskip(SKIP_2) | instid1(VALU_DEP_2)
	v_cmp_lt_i16_e32 vcc_lo, -1, v2
	v_cndmask_b32_e32 v2, 0xff800000, v21, vcc_lo
	v_cmp_eq_u32_e32 vcc_lo, 0, v44
	v_cndmask_b32_e32 v5, 0x7f800001, v2, vcc_lo
; %bb.584:                              ;   in Loop: Header=BB4_380 Depth=3
	s_or_b32 exec_lo, exec_lo, s22
.LBB4_585:                              ;   in Loop: Header=BB4_380 Depth=3
	s_delay_alu instid0(SALU_CYCLE_1)
	s_or_b32 exec_lo, exec_lo, s21
.LBB4_586:                              ;   in Loop: Header=BB4_380 Depth=3
	s_delay_alu instid0(SALU_CYCLE_1) | instskip(NEXT) | instid1(VALU_DEP_1)
	s_or_b32 exec_lo, exec_lo, s8
	v_dual_mul_f32 v5, v56, v5 :: v_dual_mov_b32 v47, v65
	v_mov_b32_e32 v45, v65
                                        ; implicit-def: $vgpr77
	s_mov_b32 s8, exec_lo
	s_delay_alu instid0(VALU_DEP_2) | instskip(SKIP_2) | instid1(VALU_DEP_3)
	v_and_b32_e32 v46, 0x7f800000, v5
	v_and_b32_e32 v44, 0x7fffff, v5
	v_lshrrev_b32_e32 v2, 24, v5
	v_cmpx_ne_u64_e32 0x7f800000, v[46:47]
	s_xor_b32 s21, exec_lo, s8
	s_cbranch_execz .LBB4_600
; %bb.587:                              ;   in Loop: Header=BB4_380 Depth=3
	v_and_b32_e32 v46, 0x7fffffff, v5
	v_mov_b32_e32 v47, v65
	v_and_b32_e32 v2, 0x80, v2
                                        ; implicit-def: $vgpr77
	s_mov_b32 s8, exec_lo
	s_delay_alu instid0(VALU_DEP_2)
	v_cmpx_gt_u64_e32 0x47600001, v[46:47]
	s_xor_b32 s22, exec_lo, s8
	s_cbranch_execz .LBB4_597
; %bb.588:                              ;   in Loop: Header=BB4_380 Depth=3
	v_mov_b32_e32 v77, 0
	s_mov_b32 s23, exec_lo
	v_cmpx_ne_u32_e32 0, v5
	s_cbranch_execz .LBB4_596
; %bb.589:                              ;   in Loop: Header=BB4_380 Depth=3
	v_bfe_u32 v5, v5, 23, 8
	v_or_b32_e32 v78, 0x800000, v44
	s_delay_alu instid0(VALU_DEP_2) | instskip(SKIP_1) | instid1(VALU_DEP_2)
	v_sub_nc_u32_e32 v46, 0x71, v5
	v_cmp_gt_u32_e32 vcc_lo, 0x72, v5
	v_cndmask_b32_e32 v46, 0, v46, vcc_lo
	v_cmp_eq_u32_e32 vcc_lo, 0, v5
	s_delay_alu instid0(VALU_DEP_2) | instskip(NEXT) | instid1(VALU_DEP_1)
	v_cndmask_b32_e64 v77, v46, 0x70, vcc_lo
	v_dual_cndmask_b32 v44, v78, v44, vcc_lo :: v_dual_add_nc_u32 v46, 21, v77
	v_add_nc_u32_e32 v89, 20, v77
	s_delay_alu instid0(VALU_DEP_2) | instskip(NEXT) | instid1(VALU_DEP_2)
	v_lshlrev_b64_e64 v[46:47], v46, -1
	v_lshlrev_b64_e64 v[90:91], v89, 1
	s_delay_alu instid0(VALU_DEP_2) | instskip(SKIP_1) | instid1(VALU_DEP_4)
	v_bfi_b32 v46, v46, 0, v44
	v_lshrrev_b64 v[44:45], v77, v[44:45]
	v_bfi_b32 v47, v47, 0, 0
	s_delay_alu instid0(VALU_DEP_1) | instskip(NEXT) | instid1(VALU_DEP_3)
	v_cmp_eq_u64_e64 s8, v[46:47], v[90:91]
	v_mov_b64_e32 v[46:47], v[44:45]
	s_and_saveexec_b32 s24, s8
; %bb.590:                              ;   in Loop: Header=BB4_380 Depth=3
	v_bfe_u32 v46, v44, 21, 1
	v_mov_b32_e32 v47, v65
	s_delay_alu instid0(VALU_DEP_1) | instskip(NEXT) | instid1(VALU_DEP_1)
	v_add_nc_u64_e32 v[46:47], v[44:45], v[46:47]
	v_add_nc_u64_e32 v[46:47], -1, v[46:47]
; %bb.591:                              ;   in Loop: Header=BB4_380 Depth=3
	s_or_b32 exec_lo, exec_lo, s24
	v_add_nc_u32_e32 v5, 0xffffff81, v5
	v_lshrrev_b32_e32 v45, 23, v44
	s_mov_b32 s8, exec_lo
	s_delay_alu instid0(VALU_DEP_2) | instskip(NEXT) | instid1(VALU_DEP_1)
	v_cndmask_b32_e64 v5, v5, 0xffffff82, vcc_lo
	v_add3_u32 v47, v77, v5, v45
	v_and_b32_e32 v5, 0x1fffff, v46
	s_delay_alu instid0(VALU_DEP_2) | instskip(NEXT) | instid1(VALU_DEP_2)
	v_dual_mov_b32 v45, v65 :: v_dual_add_nc_u32 v46, 14, v47
	v_add_nc_u32_e32 v44, v5, v44
                                        ; implicit-def: $vgpr5
	s_delay_alu instid0(VALU_DEP_2)
	v_cmpx_ne_u32_e32 0, v46
	s_xor_b32 s8, exec_lo, s8
; %bb.592:                              ;   in Loop: Header=BB4_380 Depth=3
	s_delay_alu instid0(VALU_DEP_2) | instskip(SKIP_1) | instid1(VALU_DEP_1)
	v_cmp_lt_u64_e32 vcc_lo, 0xffffff, v[44:45]
	v_add_nc_u32_e32 v5, 15, v47
	v_cndmask_b32_e32 v5, v46, v5, vcc_lo
	v_cndmask_b32_e64 v46, 0, 1, vcc_lo
	s_delay_alu instid0(VALU_DEP_1)
	v_lshrrev_b64 v[44:45], v46, v[44:45]
; %bb.593:                              ;   in Loop: Header=BB4_380 Depth=3
	s_and_not1_saveexec_b32 s8, s8
; %bb.594:                              ;   in Loop: Header=BB4_380 Depth=3
	s_delay_alu instid0(VALU_DEP_1)
	v_bfe_u32 v5, v44, 23, 1
; %bb.595:                              ;   in Loop: Header=BB4_380 Depth=3
	s_or_b32 exec_lo, exec_lo, s8
	s_delay_alu instid0(VALU_DEP_2) | instskip(NEXT) | instid1(VALU_DEP_2)
	v_lshrrev_b64 v[44:45], 21, v[44:45]
	v_cmp_gt_i32_e32 vcc_lo, 32, v5
	v_min_i32_e32 v46, 31, v5
	v_cmp_eq_u32_e64 s8, 0, v5
	s_delay_alu instid0(VALU_DEP_2) | instskip(SKIP_1) | instid1(VALU_DEP_2)
	v_dual_cndmask_b32 v44, 3, v44, vcc_lo :: v_dual_lshlrev_b32 v46, 2, v46
	v_cndmask_b32_e32 v45, 0, v45, vcc_lo
	v_and_b32_e32 v46, 0xfc, v46
	s_delay_alu instid0(VALU_DEP_2) | instskip(NEXT) | instid1(VALU_DEP_2)
	v_cmp_eq_u64_e32 vcc_lo, 0, v[44:45]
	v_and_or_b32 v5, v44, 3, v46
	s_and_b32 s8, s8, vcc_lo
	s_delay_alu instid0(VALU_DEP_1) | instid1(SALU_CYCLE_1)
	v_cndmask_b32_e64 v5, v5, 0, s8
	s_delay_alu instid0(VALU_DEP_1)
	v_or_b32_e32 v77, v5, v2
.LBB4_596:                              ;   in Loop: Header=BB4_380 Depth=3
	s_or_b32 exec_lo, exec_lo, s23
                                        ; implicit-def: $vgpr2
.LBB4_597:                              ;   in Loop: Header=BB4_380 Depth=3
	s_and_not1_saveexec_b32 s8, s22
; %bb.598:                              ;   in Loop: Header=BB4_380 Depth=3
	v_or_b32_e32 v77, 0x7b, v2
; %bb.599:                              ;   in Loop: Header=BB4_380 Depth=3
	s_or_b32 exec_lo, exec_lo, s8
                                        ; implicit-def: $vgpr5
                                        ; implicit-def: $vgpr44_vgpr45
                                        ; implicit-def: $vgpr2
.LBB4_600:                              ;   in Loop: Header=BB4_380 Depth=3
	s_and_not1_saveexec_b32 s8, s21
	s_cbranch_execz .LBB4_606
; %bb.601:                              ;   in Loop: Header=BB4_380 Depth=3
	s_mov_b32 s21, exec_lo
                                        ; implicit-def: $vgpr77
	v_cmpx_ne_u64_e32 0, v[44:45]
	s_xor_b32 s21, exec_lo, s21
; %bb.602:                              ;   in Loop: Header=BB4_380 Depth=3
	v_or_b32_e32 v77, 0x7f, v2
                                        ; implicit-def: $vgpr5
; %bb.603:                              ;   in Loop: Header=BB4_380 Depth=3
	s_and_not1_saveexec_b32 s21, s21
; %bb.604:                              ;   in Loop: Header=BB4_380 Depth=3
	v_cmp_lt_i32_e32 vcc_lo, -1, v5
	v_cndmask_b32_e32 v77, 0xfc, v59, vcc_lo
; %bb.605:                              ;   in Loop: Header=BB4_380 Depth=3
	s_or_b32 exec_lo, exec_lo, s21
.LBB4_606:                              ;   in Loop: Header=BB4_380 Depth=3
	s_delay_alu instid0(SALU_CYCLE_1)
	s_or_b32 exec_lo, exec_lo, s8
	v_mov_b32_e32 v44, 0
	s_mov_b32 s8, exec_lo
	v_cmpx_lt_u32_e32 0xffffff, v4
	s_cbranch_execz .LBB4_616
; %bb.607:                              ;   in Loop: Header=BB4_380 Depth=3
	v_lshrrev_b32_e32 v2, 24, v4
	v_bfrev_b32_e32 v44, 1
	s_mov_b32 s21, exec_lo
	s_delay_alu instid0(VALU_DEP_2)
	v_cmpx_ne_u32_e32 0x80, v2
	s_cbranch_execz .LBB4_615
; %bb.608:                              ;   in Loop: Header=BB4_380 Depth=3
	v_and_b32_e32 v5, 0x7c000000, v4
	v_bfe_u32 v45, v4, 24, 2
	s_mov_b32 s22, exec_lo
                                        ; implicit-def: $vgpr44
	s_delay_alu instid0(VALU_DEP_2)
	v_cmpx_ne_u32_e32 0x7c000000, v5
	s_xor_b32 s22, exec_lo, s22
	s_cbranch_execz .LBB4_612
; %bb.609:                              ;   in Loop: Header=BB4_380 Depth=3
	v_bfe_u32 v5, v4, 26, 5
	s_mov_b32 s23, exec_lo
	s_delay_alu instid0(VALU_DEP_1)
	v_cmpx_eq_u32_e32 0, v5
; %bb.610:                              ;   in Loop: Header=BB4_380 Depth=3
	v_clz_i32_u32_e32 v5, v45
	s_delay_alu instid0(VALU_DEP_1) | instskip(NEXT) | instid1(VALU_DEP_1)
	v_min_u32_e32 v5, 32, v5
	v_subrev_nc_u32_e32 v44, 29, v5
	s_delay_alu instid0(VALU_DEP_1) | instskip(NEXT) | instid1(VALU_DEP_1)
	v_lshlrev_b64_e32 v[44:45], v44, v[2:3]
	v_dual_sub_nc_u32 v5, 30, v5 :: v_dual_bitop2_b32 v45, 3, v44 bitop3:0x40
; %bb.611:                              ;   in Loop: Header=BB4_380 Depth=3
	s_or_b32 exec_lo, exec_lo, s23
	v_and_b32_e32 v2, 0x80000000, v4
	s_delay_alu instid0(VALU_DEP_1) | instskip(NEXT) | instid1(VALU_DEP_1)
	v_lshl_add_u32 v2, v5, 23, v2
                                        ; implicit-def: $vgpr4_vgpr5
	v_lshl_or_b32 v2, v45, 21, v2
                                        ; implicit-def: $vgpr45
	s_delay_alu instid0(VALU_DEP_1)
	v_add_nc_u32_e32 v44, 0x38000000, v2
.LBB4_612:                              ;   in Loop: Header=BB4_380 Depth=3
	s_and_not1_saveexec_b32 s22, s22
; %bb.613:                              ;   in Loop: Header=BB4_380 Depth=3
	v_cmp_lt_i32_e32 vcc_lo, -1, v4
	v_cndmask_b32_e32 v2, 0xff800000, v21, vcc_lo
	v_cmp_eq_u32_e32 vcc_lo, 0, v45
	s_delay_alu instid0(VALU_DEP_2)
	v_cndmask_b32_e32 v44, 0x7f800001, v2, vcc_lo
; %bb.614:                              ;   in Loop: Header=BB4_380 Depth=3
	s_or_b32 exec_lo, exec_lo, s22
.LBB4_615:                              ;   in Loop: Header=BB4_380 Depth=3
	s_delay_alu instid0(SALU_CYCLE_1)
	s_or_b32 exec_lo, exec_lo, s21
.LBB4_616:                              ;   in Loop: Header=BB4_380 Depth=3
	s_delay_alu instid0(SALU_CYCLE_1) | instskip(NEXT) | instid1(VALU_DEP_1)
	s_or_b32 exec_lo, exec_lo, s8
	v_dual_mul_f32 v44, v56, v44 :: v_dual_mov_b32 v47, v65
	v_mov_b32_e32 v5, v65
                                        ; implicit-def: $vgpr78
	s_mov_b32 s8, exec_lo
	s_delay_alu instid0(VALU_DEP_2) | instskip(SKIP_2) | instid1(VALU_DEP_3)
	v_and_b32_e32 v46, 0x7f800000, v44
	v_and_b32_e32 v4, 0x7fffff, v44
	v_lshrrev_b32_e32 v2, 24, v44
	v_cmpx_ne_u64_e32 0x7f800000, v[46:47]
	s_xor_b32 s21, exec_lo, s8
	s_cbranch_execz .LBB4_630
; %bb.617:                              ;   in Loop: Header=BB4_380 Depth=3
	v_and_b32_e32 v46, 0x7fffffff, v44
	v_mov_b32_e32 v47, v65
	v_and_b32_e32 v2, 0x80, v2
                                        ; implicit-def: $vgpr78
	s_mov_b32 s8, exec_lo
	s_delay_alu instid0(VALU_DEP_2)
	v_cmpx_gt_u64_e32 0x47600001, v[46:47]
	s_xor_b32 s22, exec_lo, s8
	s_cbranch_execz .LBB4_627
; %bb.618:                              ;   in Loop: Header=BB4_380 Depth=3
	v_mov_b32_e32 v78, 0
	s_mov_b32 s23, exec_lo
	v_cmpx_ne_u32_e32 0, v44
	s_cbranch_execz .LBB4_626
; %bb.619:                              ;   in Loop: Header=BB4_380 Depth=3
	v_bfe_u32 v46, v44, 23, 8
	v_or_b32_e32 v78, 0x800000, v4
	s_delay_alu instid0(VALU_DEP_2) | instskip(SKIP_1) | instid1(VALU_DEP_2)
	v_sub_nc_u32_e32 v44, 0x71, v46
	v_cmp_gt_u32_e32 vcc_lo, 0x72, v46
	v_cndmask_b32_e32 v44, 0, v44, vcc_lo
	v_cmp_eq_u32_e32 vcc_lo, 0, v46
	s_delay_alu instid0(VALU_DEP_2) | instskip(NEXT) | instid1(VALU_DEP_1)
	v_cndmask_b32_e64 v47, v44, 0x70, vcc_lo
	v_dual_cndmask_b32 v4, v78, v4, vcc_lo :: v_dual_add_nc_u32 v44, 21, v47
	v_add_nc_u32_e32 v89, 20, v47
	s_delay_alu instid0(VALU_DEP_2) | instskip(NEXT) | instid1(VALU_DEP_2)
	v_lshlrev_b64_e64 v[44:45], v44, -1
	v_lshlrev_b64_e64 v[90:91], v89, 1
	s_delay_alu instid0(VALU_DEP_2) | instskip(SKIP_1) | instid1(VALU_DEP_4)
	v_bfi_b32 v44, v44, 0, v4
	v_lshrrev_b64 v[4:5], v47, v[4:5]
	v_bfi_b32 v45, v45, 0, 0
	s_delay_alu instid0(VALU_DEP_1) | instskip(NEXT) | instid1(VALU_DEP_3)
	v_cmp_eq_u64_e64 s8, v[44:45], v[90:91]
	v_mov_b64_e32 v[44:45], v[4:5]
	s_and_saveexec_b32 s24, s8
; %bb.620:                              ;   in Loop: Header=BB4_380 Depth=3
	v_bfe_u32 v44, v4, 21, 1
	v_mov_b32_e32 v45, v65
	s_delay_alu instid0(VALU_DEP_1) | instskip(NEXT) | instid1(VALU_DEP_1)
	v_add_nc_u64_e32 v[44:45], v[4:5], v[44:45]
	v_add_nc_u64_e32 v[44:45], -1, v[44:45]
; %bb.621:                              ;   in Loop: Header=BB4_380 Depth=3
	s_or_b32 exec_lo, exec_lo, s24
	v_add_nc_u32_e32 v5, 0xffffff81, v46
	v_lshrrev_b32_e32 v45, 23, v4
	s_mov_b32 s8, exec_lo
	s_delay_alu instid0(VALU_DEP_2) | instskip(NEXT) | instid1(VALU_DEP_1)
	v_cndmask_b32_e64 v5, v5, 0xffffff82, vcc_lo
	v_add3_u32 v45, v47, v5, v45
	v_and_b32_e32 v5, 0x1fffff, v44
                                        ; implicit-def: $vgpr44
	s_delay_alu instid0(VALU_DEP_1) | instskip(SKIP_1) | instid1(VALU_DEP_2)
	v_dual_add_nc_u32 v46, 14, v45 :: v_dual_add_nc_u32 v4, v5, v4
	v_mov_b32_e32 v5, v65
	v_cmpx_ne_u32_e32 0, v46
	s_xor_b32 s8, exec_lo, s8
; %bb.622:                              ;   in Loop: Header=BB4_380 Depth=3
	s_delay_alu instid0(VALU_DEP_2) | instskip(SKIP_2) | instid1(VALU_DEP_2)
	v_cmp_lt_u64_e32 vcc_lo, 0xffffff, v[4:5]
	v_add_nc_u32_e32 v44, 15, v45
	v_cndmask_b32_e64 v45, 0, 1, vcc_lo
	v_cndmask_b32_e32 v44, v46, v44, vcc_lo
	s_delay_alu instid0(VALU_DEP_2)
	v_lshrrev_b64 v[4:5], v45, v[4:5]
; %bb.623:                              ;   in Loop: Header=BB4_380 Depth=3
	s_and_not1_saveexec_b32 s8, s8
; %bb.624:                              ;   in Loop: Header=BB4_380 Depth=3
	s_delay_alu instid0(VALU_DEP_1)
	v_bfe_u32 v44, v4, 23, 1
; %bb.625:                              ;   in Loop: Header=BB4_380 Depth=3
	s_or_b32 exec_lo, exec_lo, s8
	s_delay_alu instid0(VALU_DEP_2) | instskip(NEXT) | instid1(VALU_DEP_2)
	v_lshrrev_b64 v[4:5], 21, v[4:5]
	v_cmp_gt_i32_e32 vcc_lo, 32, v44
	v_min_i32_e32 v45, 31, v44
	v_cmp_eq_u32_e64 s8, 0, v44
	s_delay_alu instid0(VALU_DEP_4) | instskip(NEXT) | instid1(VALU_DEP_3)
	v_cndmask_b32_e32 v5, 0, v5, vcc_lo
	v_dual_cndmask_b32 v4, 3, v4 :: v_dual_lshlrev_b32 v45, 2, v45
	s_delay_alu instid0(VALU_DEP_1) | instskip(NEXT) | instid1(VALU_DEP_2)
	v_and_b32_e32 v45, 0xfc, v45
	v_cmp_eq_u64_e32 vcc_lo, 0, v[4:5]
	s_delay_alu instid0(VALU_DEP_2)
	v_and_or_b32 v4, v4, 3, v45
	s_and_b32 s8, s8, vcc_lo
	s_delay_alu instid0(VALU_DEP_1) | instid1(SALU_CYCLE_1)
	v_cndmask_b32_e64 v4, v4, 0, s8
	s_delay_alu instid0(VALU_DEP_1)
	v_or_b32_e32 v78, v4, v2
.LBB4_626:                              ;   in Loop: Header=BB4_380 Depth=3
	s_or_b32 exec_lo, exec_lo, s23
                                        ; implicit-def: $vgpr2
.LBB4_627:                              ;   in Loop: Header=BB4_380 Depth=3
	s_and_not1_saveexec_b32 s8, s22
; %bb.628:                              ;   in Loop: Header=BB4_380 Depth=3
	v_or_b32_e32 v78, 0x7b, v2
; %bb.629:                              ;   in Loop: Header=BB4_380 Depth=3
	s_or_b32 exec_lo, exec_lo, s8
                                        ; implicit-def: $vgpr44
                                        ; implicit-def: $vgpr4_vgpr5
                                        ; implicit-def: $vgpr2
.LBB4_630:                              ;   in Loop: Header=BB4_380 Depth=3
	s_and_not1_saveexec_b32 s8, s21
	s_cbranch_execz .LBB4_636
; %bb.631:                              ;   in Loop: Header=BB4_380 Depth=3
	s_mov_b32 s21, exec_lo
                                        ; implicit-def: $vgpr78
	v_cmpx_ne_u64_e32 0, v[4:5]
	s_xor_b32 s21, exec_lo, s21
; %bb.632:                              ;   in Loop: Header=BB4_380 Depth=3
	v_or_b32_e32 v78, 0x7f, v2
                                        ; implicit-def: $vgpr44
; %bb.633:                              ;   in Loop: Header=BB4_380 Depth=3
	s_and_not1_saveexec_b32 s21, s21
; %bb.634:                              ;   in Loop: Header=BB4_380 Depth=3
	v_cmp_lt_i32_e32 vcc_lo, -1, v44
	v_cndmask_b32_e32 v78, 0xfc, v59, vcc_lo
; %bb.635:                              ;   in Loop: Header=BB4_380 Depth=3
	s_or_b32 exec_lo, exec_lo, s21
.LBB4_636:                              ;   in Loop: Header=BB4_380 Depth=3
	s_delay_alu instid0(SALU_CYCLE_1) | instskip(SKIP_4) | instid1(VALU_DEP_2)
	s_or_b32 exec_lo, exec_lo, s8
	s_wait_loadcnt 0x0
	v_and_b32_e32 v2, 0xff, v16
	v_dual_mov_b32 v44, 0 :: v_dual_mov_b32 v45, 0
	s_mov_b32 s8, exec_lo
	v_cmpx_ne_u16_e32 0, v2
	s_cbranch_execz .LBB4_646
; %bb.637:                              ;   in Loop: Header=BB4_380 Depth=3
	v_bfe_i32 v4, v16, 0, 8
	v_bfrev_b32_e32 v45, 1
	s_mov_b32 s21, exec_lo
	s_delay_alu instid0(VALU_DEP_2)
	v_cmpx_ne_u16_e32 0xff80, v4
	s_cbranch_execz .LBB4_645
; %bb.638:                              ;   in Loop: Header=BB4_380 Depth=3
	v_and_b32_e32 v5, 0x7c, v16
	v_and_b32_e32 v2, 3, v16
	s_mov_b32 s22, exec_lo
                                        ; implicit-def: $vgpr45
	s_delay_alu instid0(VALU_DEP_2)
	v_cmpx_ne_u32_e32 0x7c, v5
	s_xor_b32 s22, exec_lo, s22
	s_cbranch_execz .LBB4_642
; %bb.639:                              ;   in Loop: Header=BB4_380 Depth=3
	v_bfe_u32 v4, v16, 2, 5
	s_mov_b32 s23, exec_lo
	s_delay_alu instid0(VALU_DEP_1)
	v_cmpx_eq_u32_e32 0, v4
; %bb.640:                              ;   in Loop: Header=BB4_380 Depth=3
	v_clz_i32_u32_e32 v2, v2
	s_delay_alu instid0(VALU_DEP_1) | instskip(NEXT) | instid1(VALU_DEP_1)
	v_min_u32_e32 v2, 32, v2
	v_subrev_nc_u32_e32 v4, 29, v2
	s_delay_alu instid0(VALU_DEP_1) | instskip(SKIP_1) | instid1(VALU_DEP_2)
	v_lshlrev_b64_e32 v[46:47], v4, v[16:17]
	v_sub_nc_u32_e32 v4, 30, v2
	v_and_b32_e32 v2, 3, v46
; %bb.641:                              ;   in Loop: Header=BB4_380 Depth=3
	s_or_b32 exec_lo, exec_lo, s23
	v_lshlrev_b32_e32 v5, 24, v16
	s_delay_alu instid0(VALU_DEP_1) | instskip(NEXT) | instid1(VALU_DEP_1)
	v_and_b32_e32 v5, 0x80000000, v5
	v_lshl_add_u32 v4, v4, 23, v5
	s_delay_alu instid0(VALU_DEP_1) | instskip(NEXT) | instid1(VALU_DEP_1)
	v_lshl_or_b32 v2, v2, 21, v4
                                        ; implicit-def: $vgpr4
	v_add_nc_u32_e32 v45, 0x38000000, v2
                                        ; implicit-def: $vgpr2
.LBB4_642:                              ;   in Loop: Header=BB4_380 Depth=3
	s_and_not1_saveexec_b32 s22, s22
; %bb.643:                              ;   in Loop: Header=BB4_380 Depth=3
	v_cmp_lt_i16_e32 vcc_lo, -1, v4
	v_cndmask_b32_e32 v4, 0xff800000, v21, vcc_lo
	v_cmp_eq_u32_e32 vcc_lo, 0, v2
	s_delay_alu instid0(VALU_DEP_2)
	v_cndmask_b32_e32 v45, 0x7f800001, v4, vcc_lo
; %bb.644:                              ;   in Loop: Header=BB4_380 Depth=3
	s_or_b32 exec_lo, exec_lo, s22
.LBB4_645:                              ;   in Loop: Header=BB4_380 Depth=3
	s_delay_alu instid0(SALU_CYCLE_1)
	s_or_b32 exec_lo, exec_lo, s21
.LBB4_646:                              ;   in Loop: Header=BB4_380 Depth=3
	s_delay_alu instid0(SALU_CYCLE_1) | instskip(SKIP_4) | instid1(VALU_DEP_2)
	s_or_b32 exec_lo, exec_lo, s8
	v_lshl_or_b32 v2, v75, 8, v73
	v_dual_lshlrev_b32 v4, 16, v79 :: v_dual_lshlrev_b32 v17, 24, v88
	v_mov_b32_e32 v5, v65
	s_mov_b32 s8, exec_lo
	v_or3_b32 v4, v4, v17, v2
	v_cmpx_ne_u32_e32 0, v73
	s_cbranch_execz .LBB4_656
; %bb.647:                              ;   in Loop: Header=BB4_380 Depth=3
	v_bfrev_b32_e32 v44, 1
	s_mov_b32 s21, exec_lo
	v_cmpx_ne_u32_e32 0x80, v73
	s_cbranch_execz .LBB4_655
; %bb.648:                              ;   in Loop: Header=BB4_380 Depth=3
	v_and_b32_e32 v44, 0x7c, v73
	v_and_b32_e32 v17, 3, v73
	s_delay_alu instid0(VALU_DEP_2) | instskip(SKIP_1) | instid1(SALU_CYCLE_1)
	v_cmp_ne_u32_e32 vcc_lo, 0x7c, v44
                                        ; implicit-def: $vgpr44
	s_and_saveexec_b32 s22, vcc_lo
	s_xor_b32 s22, exec_lo, s22
	s_cbranch_execz .LBB4_652
; %bb.649:                              ;   in Loop: Header=BB4_380 Depth=3
	v_bfe_u32 v44, v73, 2, 5
	s_mov_b32 s23, exec_lo
	s_delay_alu instid0(VALU_DEP_1)
	v_cmpx_eq_u32_e32 0, v44
; %bb.650:                              ;   in Loop: Header=BB4_380 Depth=3
	v_clz_i32_u32_e32 v17, v17
	s_delay_alu instid0(VALU_DEP_1) | instskip(NEXT) | instid1(VALU_DEP_1)
	v_min_u32_e32 v17, 32, v17
	v_subrev_nc_u32_e32 v44, 29, v17
	s_delay_alu instid0(VALU_DEP_1) | instskip(NEXT) | instid1(VALU_DEP_1)
	v_lshlrev_b64_e32 v[46:47], v44, v[4:5]
	v_dual_sub_nc_u32 v44, 30, v17 :: v_dual_bitop2_b32 v17, 3, v46 bitop3:0x40
; %bb.651:                              ;   in Loop: Header=BB4_380 Depth=3
	s_or_b32 exec_lo, exec_lo, s23
	v_lshlrev_b32_e32 v5, 24, v73
                                        ; implicit-def: $vgpr73
	s_delay_alu instid0(VALU_DEP_1) | instskip(NEXT) | instid1(VALU_DEP_1)
	v_and_b32_e32 v5, 0x80000000, v5
	v_lshl_add_u32 v5, v44, 23, v5
	s_delay_alu instid0(VALU_DEP_1) | instskip(NEXT) | instid1(VALU_DEP_1)
	v_lshl_or_b32 v5, v17, 21, v5
                                        ; implicit-def: $vgpr17
	v_add_nc_u32_e32 v44, 0x38000000, v5
.LBB4_652:                              ;   in Loop: Header=BB4_380 Depth=3
	s_and_not1_saveexec_b32 s22, s22
; %bb.653:                              ;   in Loop: Header=BB4_380 Depth=3
	v_and_b32_e32 v5, 0x80, v73
	s_delay_alu instid0(VALU_DEP_1) | instskip(SKIP_2) | instid1(VALU_DEP_2)
	v_cmp_eq_u32_e32 vcc_lo, 0, v5
	v_cndmask_b32_e32 v5, 0xff800000, v21, vcc_lo
	v_cmp_eq_u32_e32 vcc_lo, 0, v17
	v_cndmask_b32_e32 v44, 0x7f800001, v5, vcc_lo
; %bb.654:                              ;   in Loop: Header=BB4_380 Depth=3
	s_or_b32 exec_lo, exec_lo, s22
.LBB4_655:                              ;   in Loop: Header=BB4_380 Depth=3
	s_delay_alu instid0(SALU_CYCLE_1)
	s_or_b32 exec_lo, exec_lo, s21
.LBB4_656:                              ;   in Loop: Header=BB4_380 Depth=3
	s_delay_alu instid0(SALU_CYCLE_1) | instskip(NEXT) | instid1(VALU_DEP_1)
	s_or_b32 exec_lo, exec_lo, s8
	v_add_f32_e32 v17, v45, v44
	v_dual_mov_b32 v47, v65 :: v_dual_mov_b32 v45, v65
                                        ; implicit-def: $vgpr73
	s_mov_b32 s8, exec_lo
	s_delay_alu instid0(VALU_DEP_2) | instskip(SKIP_2) | instid1(VALU_DEP_3)
	v_and_b32_e32 v46, 0x7f800000, v17
	v_and_b32_e32 v44, 0x7fffff, v17
	v_lshrrev_b32_e32 v5, 24, v17
	v_cmpx_ne_u64_e32 0x7f800000, v[46:47]
	s_xor_b32 s21, exec_lo, s8
	s_cbranch_execz .LBB4_670
; %bb.657:                              ;   in Loop: Header=BB4_380 Depth=3
	v_and_b32_e32 v46, 0x7fffffff, v17
	v_mov_b32_e32 v47, v65
	v_and_b32_e32 v5, 0x80, v5
                                        ; implicit-def: $vgpr73
	s_mov_b32 s8, exec_lo
	s_delay_alu instid0(VALU_DEP_2)
	v_cmpx_gt_u64_e32 0x47600001, v[46:47]
	s_xor_b32 s22, exec_lo, s8
	s_cbranch_execz .LBB4_667
; %bb.658:                              ;   in Loop: Header=BB4_380 Depth=3
	v_mov_b32_e32 v73, 0
	s_mov_b32 s23, exec_lo
	v_cmpx_ne_u32_e32 0, v17
	s_cbranch_execz .LBB4_666
; %bb.659:                              ;   in Loop: Header=BB4_380 Depth=3
	v_bfe_u32 v17, v17, 23, 8
	v_or_b32_e32 v75, 0x800000, v44
	s_delay_alu instid0(VALU_DEP_2) | instskip(SKIP_1) | instid1(VALU_DEP_2)
	v_sub_nc_u32_e32 v46, 0x71, v17
	v_cmp_gt_u32_e32 vcc_lo, 0x72, v17
	v_cndmask_b32_e32 v46, 0, v46, vcc_lo
	v_cmp_eq_u32_e32 vcc_lo, 0, v17
	s_delay_alu instid0(VALU_DEP_2) | instskip(NEXT) | instid1(VALU_DEP_1)
	v_cndmask_b32_e64 v73, v46, 0x70, vcc_lo
	v_dual_cndmask_b32 v44, v75, v44, vcc_lo :: v_dual_add_nc_u32 v46, 21, v73
	v_add_nc_u32_e32 v79, 20, v73
	s_delay_alu instid0(VALU_DEP_2) | instskip(NEXT) | instid1(VALU_DEP_2)
	v_lshlrev_b64_e64 v[46:47], v46, -1
	v_lshlrev_b64_e64 v[88:89], v79, 1
	s_delay_alu instid0(VALU_DEP_2) | instskip(SKIP_1) | instid1(VALU_DEP_4)
	v_bfi_b32 v46, v46, 0, v44
	v_lshrrev_b64 v[44:45], v73, v[44:45]
	v_bfi_b32 v47, v47, 0, 0
	s_delay_alu instid0(VALU_DEP_1) | instskip(NEXT) | instid1(VALU_DEP_3)
	v_cmp_eq_u64_e64 s8, v[46:47], v[88:89]
	v_mov_b64_e32 v[46:47], v[44:45]
	s_and_saveexec_b32 s24, s8
; %bb.660:                              ;   in Loop: Header=BB4_380 Depth=3
	v_bfe_u32 v46, v44, 21, 1
	v_mov_b32_e32 v47, v65
	s_delay_alu instid0(VALU_DEP_1) | instskip(NEXT) | instid1(VALU_DEP_1)
	v_add_nc_u64_e32 v[46:47], v[44:45], v[46:47]
	v_add_nc_u64_e32 v[46:47], -1, v[46:47]
; %bb.661:                              ;   in Loop: Header=BB4_380 Depth=3
	s_or_b32 exec_lo, exec_lo, s24
	v_add_nc_u32_e32 v17, 0xffffff81, v17
	v_lshrrev_b32_e32 v45, 23, v44
	s_mov_b32 s8, exec_lo
	s_delay_alu instid0(VALU_DEP_2) | instskip(NEXT) | instid1(VALU_DEP_1)
	v_cndmask_b32_e64 v17, v17, 0xffffff82, vcc_lo
	v_add3_u32 v47, v73, v17, v45
	v_and_b32_e32 v17, 0x1fffff, v46
	s_delay_alu instid0(VALU_DEP_2) | instskip(NEXT) | instid1(VALU_DEP_2)
	v_dual_mov_b32 v45, v65 :: v_dual_add_nc_u32 v46, 14, v47
	v_add_nc_u32_e32 v44, v17, v44
                                        ; implicit-def: $vgpr17
	s_delay_alu instid0(VALU_DEP_2)
	v_cmpx_ne_u32_e32 0, v46
	s_xor_b32 s8, exec_lo, s8
; %bb.662:                              ;   in Loop: Header=BB4_380 Depth=3
	s_delay_alu instid0(VALU_DEP_2) | instskip(SKIP_1) | instid1(VALU_DEP_1)
	v_cmp_lt_u64_e32 vcc_lo, 0xffffff, v[44:45]
	v_add_nc_u32_e32 v17, 15, v47
	v_cndmask_b32_e32 v17, v46, v17, vcc_lo
	v_cndmask_b32_e64 v46, 0, 1, vcc_lo
	s_delay_alu instid0(VALU_DEP_1)
	v_lshrrev_b64 v[44:45], v46, v[44:45]
; %bb.663:                              ;   in Loop: Header=BB4_380 Depth=3
	s_and_not1_saveexec_b32 s8, s8
; %bb.664:                              ;   in Loop: Header=BB4_380 Depth=3
	s_delay_alu instid0(VALU_DEP_1)
	v_bfe_u32 v17, v44, 23, 1
; %bb.665:                              ;   in Loop: Header=BB4_380 Depth=3
	s_or_b32 exec_lo, exec_lo, s8
	s_delay_alu instid0(VALU_DEP_2) | instskip(NEXT) | instid1(VALU_DEP_2)
	v_lshrrev_b64 v[44:45], 21, v[44:45]
	v_cmp_gt_i32_e32 vcc_lo, 32, v17
	v_min_i32_e32 v46, 31, v17
	v_cmp_eq_u32_e64 s8, 0, v17
	s_delay_alu instid0(VALU_DEP_2) | instskip(SKIP_1) | instid1(VALU_DEP_2)
	v_dual_cndmask_b32 v44, 3, v44, vcc_lo :: v_dual_lshlrev_b32 v46, 2, v46
	v_cndmask_b32_e32 v45, 0, v45, vcc_lo
	v_and_b32_e32 v46, 0xfc, v46
	s_delay_alu instid0(VALU_DEP_2) | instskip(NEXT) | instid1(VALU_DEP_2)
	v_cmp_eq_u64_e32 vcc_lo, 0, v[44:45]
	v_and_or_b32 v17, v44, 3, v46
	s_and_b32 s8, s8, vcc_lo
	s_delay_alu instid0(VALU_DEP_1) | instid1(SALU_CYCLE_1)
	v_cndmask_b32_e64 v17, v17, 0, s8
	s_delay_alu instid0(VALU_DEP_1)
	v_or_b32_e32 v73, v17, v5
.LBB4_666:                              ;   in Loop: Header=BB4_380 Depth=3
	s_or_b32 exec_lo, exec_lo, s23
                                        ; implicit-def: $vgpr5
.LBB4_667:                              ;   in Loop: Header=BB4_380 Depth=3
	s_and_not1_saveexec_b32 s8, s22
; %bb.668:                              ;   in Loop: Header=BB4_380 Depth=3
	v_or_b32_e32 v73, 0x7b, v5
; %bb.669:                              ;   in Loop: Header=BB4_380 Depth=3
	s_or_b32 exec_lo, exec_lo, s8
                                        ; implicit-def: $vgpr17
                                        ; implicit-def: $vgpr44_vgpr45
                                        ; implicit-def: $vgpr5
.LBB4_670:                              ;   in Loop: Header=BB4_380 Depth=3
	s_and_not1_saveexec_b32 s8, s21
	s_cbranch_execz .LBB4_676
; %bb.671:                              ;   in Loop: Header=BB4_380 Depth=3
	s_mov_b32 s21, exec_lo
                                        ; implicit-def: $vgpr73
	v_cmpx_ne_u64_e32 0, v[44:45]
	s_xor_b32 s21, exec_lo, s21
; %bb.672:                              ;   in Loop: Header=BB4_380 Depth=3
	v_or_b32_e32 v73, 0x7f, v5
                                        ; implicit-def: $vgpr17
; %bb.673:                              ;   in Loop: Header=BB4_380 Depth=3
	s_and_not1_saveexec_b32 s21, s21
; %bb.674:                              ;   in Loop: Header=BB4_380 Depth=3
	v_cmp_lt_i32_e32 vcc_lo, -1, v17
	v_cndmask_b32_e32 v73, 0xfc, v59, vcc_lo
; %bb.675:                              ;   in Loop: Header=BB4_380 Depth=3
	s_or_b32 exec_lo, exec_lo, s21
.LBB4_676:                              ;   in Loop: Header=BB4_380 Depth=3
	s_delay_alu instid0(SALU_CYCLE_1) | instskip(SKIP_3) | instid1(VALU_DEP_2)
	s_or_b32 exec_lo, exec_lo, s8
	v_lshrrev_b16 v44, 8, v16
	v_dual_mov_b32 v5, 0 :: v_dual_mov_b32 v17, 0
	s_mov_b32 s8, exec_lo
	v_cmpx_ne_u16_e32 0, v44
	s_cbranch_execz .LBB4_686
; %bb.677:                              ;   in Loop: Header=BB4_380 Depth=3
	v_bfrev_b32_e32 v17, 1
	s_mov_b32 s21, exec_lo
	v_cmpx_ne_u16_e32 0x80, v44
	s_cbranch_execz .LBB4_685
; %bb.678:                              ;   in Loop: Header=BB4_380 Depth=3
	v_and_b32_e32 v46, 0xffff, v44
	s_delay_alu instid0(VALU_DEP_1) | instskip(SKIP_1) | instid1(VALU_DEP_2)
	v_and_b32_e32 v17, 0x7c, v46
	v_and_b32_e32 v45, 3, v46
	v_cmp_ne_u32_e32 vcc_lo, 0x7c, v17
                                        ; implicit-def: $vgpr17
	s_and_saveexec_b32 s22, vcc_lo
	s_delay_alu instid0(SALU_CYCLE_1)
	s_xor_b32 s22, exec_lo, s22
	s_cbranch_execz .LBB4_682
; %bb.679:                              ;   in Loop: Header=BB4_380 Depth=3
	v_bfe_u32 v17, v46, 2, 5
	s_mov_b32 s23, exec_lo
	s_delay_alu instid0(VALU_DEP_1)
	v_cmpx_eq_u32_e32 0, v17
	s_cbranch_execz .LBB4_681
; %bb.680:                              ;   in Loop: Header=BB4_380 Depth=3
	v_clz_i32_u32_e32 v17, v45
	s_delay_alu instid0(VALU_DEP_1) | instskip(SKIP_1) | instid1(VALU_DEP_2)
	v_min_u32_e32 v17, 32, v17
	v_mov_b32_e32 v45, v65
	v_subrev_nc_u32_e32 v46, 29, v17
	v_sub_nc_u32_e32 v17, 30, v17
	s_delay_alu instid0(VALU_DEP_2) | instskip(NEXT) | instid1(VALU_DEP_1)
	v_lshlrev_b64_e32 v[44:45], v46, v[44:45]
	v_and_b32_e32 v45, 3, v44
.LBB4_681:                              ;   in Loop: Header=BB4_380 Depth=3
	s_or_b32 exec_lo, exec_lo, s23
	v_lshlrev_b32_e32 v44, 16, v16
	s_delay_alu instid0(VALU_DEP_1) | instskip(NEXT) | instid1(VALU_DEP_1)
	v_and_b32_e32 v44, 0x80000000, v44
	v_lshl_add_u32 v17, v17, 23, v44
	s_delay_alu instid0(VALU_DEP_1) | instskip(NEXT) | instid1(VALU_DEP_1)
	v_lshl_or_b32 v17, v45, 21, v17
                                        ; implicit-def: $vgpr45
	v_add_nc_u32_e32 v17, 0x38000000, v17
.LBB4_682:                              ;   in Loop: Header=BB4_380 Depth=3
	s_and_not1_saveexec_b32 s22, s22
; %bb.683:                              ;   in Loop: Header=BB4_380 Depth=3
	v_cmp_lt_i16_e32 vcc_lo, -1, v16
	v_cndmask_b32_e32 v17, 0xff800000, v21, vcc_lo
	v_cmp_eq_u32_e32 vcc_lo, 0, v45
	s_delay_alu instid0(VALU_DEP_2)
	v_cndmask_b32_e32 v17, 0x7f800001, v17, vcc_lo
; %bb.684:                              ;   in Loop: Header=BB4_380 Depth=3
	s_or_b32 exec_lo, exec_lo, s22
.LBB4_685:                              ;   in Loop: Header=BB4_380 Depth=3
	s_delay_alu instid0(SALU_CYCLE_1)
	s_or_b32 exec_lo, exec_lo, s21
.LBB4_686:                              ;   in Loop: Header=BB4_380 Depth=3
	s_delay_alu instid0(SALU_CYCLE_1) | instskip(SKIP_2) | instid1(VALU_DEP_1)
	s_or_b32 exec_lo, exec_lo, s8
	v_lshrrev_b16 v44, 8, v2
	s_mov_b32 s8, exec_lo
	v_cmpx_ne_u16_e32 0, v44
	s_cbranch_execz .LBB4_696
; %bb.687:                              ;   in Loop: Header=BB4_380 Depth=3
	v_bfrev_b32_e32 v5, 1
	s_mov_b32 s21, exec_lo
	v_cmpx_ne_u16_e32 0x80, v44
	s_cbranch_execz .LBB4_695
; %bb.688:                              ;   in Loop: Header=BB4_380 Depth=3
	v_and_b32_e32 v46, 0xffff, v44
	s_delay_alu instid0(VALU_DEP_1) | instskip(SKIP_1) | instid1(VALU_DEP_2)
	v_and_b32_e32 v5, 0x7c, v46
	v_and_b32_e32 v45, 3, v46
	v_cmp_ne_u32_e32 vcc_lo, 0x7c, v5
                                        ; implicit-def: $vgpr5
	s_and_saveexec_b32 s22, vcc_lo
	s_delay_alu instid0(SALU_CYCLE_1)
	s_xor_b32 s22, exec_lo, s22
	s_cbranch_execz .LBB4_692
; %bb.689:                              ;   in Loop: Header=BB4_380 Depth=3
	v_bfe_u32 v5, v46, 2, 5
	s_mov_b32 s23, exec_lo
	s_delay_alu instid0(VALU_DEP_1)
	v_cmpx_eq_u32_e32 0, v5
	s_cbranch_execz .LBB4_691
; %bb.690:                              ;   in Loop: Header=BB4_380 Depth=3
	v_clz_i32_u32_e32 v5, v45
	s_delay_alu instid0(VALU_DEP_1) | instskip(SKIP_1) | instid1(VALU_DEP_2)
	v_min_u32_e32 v5, 32, v5
	v_mov_b32_e32 v45, v65
	v_subrev_nc_u32_e32 v46, 29, v5
	v_sub_nc_u32_e32 v5, 30, v5
	s_delay_alu instid0(VALU_DEP_2) | instskip(NEXT) | instid1(VALU_DEP_1)
	v_lshlrev_b64_e32 v[44:45], v46, v[44:45]
	v_and_b32_e32 v45, 3, v44
.LBB4_691:                              ;   in Loop: Header=BB4_380 Depth=3
	s_or_b32 exec_lo, exec_lo, s23
	v_lshlrev_b32_e32 v2, 16, v2
	s_delay_alu instid0(VALU_DEP_1) | instskip(NEXT) | instid1(VALU_DEP_1)
	v_and_b32_e32 v2, 0x80000000, v2
	v_lshl_add_u32 v2, v5, 23, v2
	s_delay_alu instid0(VALU_DEP_1) | instskip(NEXT) | instid1(VALU_DEP_1)
	v_lshl_or_b32 v2, v45, 21, v2
                                        ; implicit-def: $vgpr45
	v_add_nc_u32_e32 v5, 0x38000000, v2
                                        ; implicit-def: $vgpr2
.LBB4_692:                              ;   in Loop: Header=BB4_380 Depth=3
	s_and_not1_saveexec_b32 s22, s22
; %bb.693:                              ;   in Loop: Header=BB4_380 Depth=3
	v_cmp_lt_i16_e32 vcc_lo, -1, v2
	v_cndmask_b32_e32 v2, 0xff800000, v21, vcc_lo
	v_cmp_eq_u32_e32 vcc_lo, 0, v45
	s_delay_alu instid0(VALU_DEP_2)
	v_cndmask_b32_e32 v5, 0x7f800001, v2, vcc_lo
; %bb.694:                              ;   in Loop: Header=BB4_380 Depth=3
	s_or_b32 exec_lo, exec_lo, s22
.LBB4_695:                              ;   in Loop: Header=BB4_380 Depth=3
	s_delay_alu instid0(SALU_CYCLE_1)
	s_or_b32 exec_lo, exec_lo, s21
.LBB4_696:                              ;   in Loop: Header=BB4_380 Depth=3
	s_delay_alu instid0(SALU_CYCLE_1) | instskip(NEXT) | instid1(VALU_DEP_1)
	s_or_b32 exec_lo, exec_lo, s8
	v_add_f32_e32 v5, v17, v5
	v_dual_mov_b32 v47, v65 :: v_dual_mov_b32 v45, v65
                                        ; implicit-def: $vgpr75
	s_mov_b32 s8, exec_lo
	s_delay_alu instid0(VALU_DEP_2) | instskip(SKIP_2) | instid1(VALU_DEP_3)
	v_and_b32_e32 v46, 0x7f800000, v5
	v_and_b32_e32 v44, 0x7fffff, v5
	v_lshrrev_b32_e32 v2, 24, v5
	v_cmpx_ne_u64_e32 0x7f800000, v[46:47]
	s_xor_b32 s21, exec_lo, s8
	s_cbranch_execz .LBB4_710
; %bb.697:                              ;   in Loop: Header=BB4_380 Depth=3
	v_and_b32_e32 v46, 0x7fffffff, v5
	v_mov_b32_e32 v47, v65
	v_and_b32_e32 v2, 0x80, v2
                                        ; implicit-def: $vgpr75
	s_mov_b32 s8, exec_lo
	s_delay_alu instid0(VALU_DEP_2)
	v_cmpx_gt_u64_e32 0x47600001, v[46:47]
	s_xor_b32 s22, exec_lo, s8
	s_cbranch_execz .LBB4_707
; %bb.698:                              ;   in Loop: Header=BB4_380 Depth=3
	v_mov_b32_e32 v75, 0
	s_mov_b32 s23, exec_lo
	v_cmpx_ne_u32_e32 0, v5
	s_cbranch_execz .LBB4_706
; %bb.699:                              ;   in Loop: Header=BB4_380 Depth=3
	v_bfe_u32 v5, v5, 23, 8
	v_or_b32_e32 v75, 0x800000, v44
	s_delay_alu instid0(VALU_DEP_2) | instskip(SKIP_1) | instid1(VALU_DEP_2)
	v_sub_nc_u32_e32 v17, 0x71, v5
	v_cmp_gt_u32_e32 vcc_lo, 0x72, v5
	v_cndmask_b32_e32 v17, 0, v17, vcc_lo
	v_cmp_eq_u32_e32 vcc_lo, 0, v5
	s_delay_alu instid0(VALU_DEP_2) | instskip(NEXT) | instid1(VALU_DEP_1)
	v_cndmask_b32_e64 v17, v17, 0x70, vcc_lo
	v_dual_cndmask_b32 v44, v75, v44, vcc_lo :: v_dual_add_nc_u32 v46, 21, v17
	v_add_nc_u32_e32 v79, 20, v17
	s_delay_alu instid0(VALU_DEP_2) | instskip(NEXT) | instid1(VALU_DEP_2)
	v_lshlrev_b64_e64 v[46:47], v46, -1
	v_lshlrev_b64_e64 v[88:89], v79, 1
	s_delay_alu instid0(VALU_DEP_2) | instskip(SKIP_1) | instid1(VALU_DEP_4)
	v_bfi_b32 v46, v46, 0, v44
	v_lshrrev_b64 v[44:45], v17, v[44:45]
	v_bfi_b32 v47, v47, 0, 0
	s_delay_alu instid0(VALU_DEP_1) | instskip(NEXT) | instid1(VALU_DEP_3)
	v_cmp_eq_u64_e64 s8, v[46:47], v[88:89]
	v_mov_b64_e32 v[46:47], v[44:45]
	s_and_saveexec_b32 s24, s8
; %bb.700:                              ;   in Loop: Header=BB4_380 Depth=3
	v_bfe_u32 v46, v44, 21, 1
	v_mov_b32_e32 v47, v65
	s_delay_alu instid0(VALU_DEP_1) | instskip(NEXT) | instid1(VALU_DEP_1)
	v_add_nc_u64_e32 v[46:47], v[44:45], v[46:47]
	v_add_nc_u64_e32 v[46:47], -1, v[46:47]
; %bb.701:                              ;   in Loop: Header=BB4_380 Depth=3
	s_or_b32 exec_lo, exec_lo, s24
	v_add_nc_u32_e32 v5, 0xffffff81, v5
	v_lshrrev_b32_e32 v45, 23, v44
	s_mov_b32 s8, exec_lo
	s_delay_alu instid0(VALU_DEP_2) | instskip(NEXT) | instid1(VALU_DEP_1)
	v_cndmask_b32_e64 v5, v5, 0xffffff82, vcc_lo
	v_add3_u32 v17, v17, v5, v45
	v_and_b32_e32 v5, 0x1fffff, v46
	s_delay_alu instid0(VALU_DEP_2) | instskip(NEXT) | instid1(VALU_DEP_2)
	v_dual_mov_b32 v45, v65 :: v_dual_add_nc_u32 v46, 14, v17
	v_add_nc_u32_e32 v44, v5, v44
                                        ; implicit-def: $vgpr5
	s_delay_alu instid0(VALU_DEP_2)
	v_cmpx_ne_u32_e32 0, v46
	s_xor_b32 s8, exec_lo, s8
; %bb.702:                              ;   in Loop: Header=BB4_380 Depth=3
	s_delay_alu instid0(VALU_DEP_2) | instskip(SKIP_2) | instid1(VALU_DEP_2)
	v_cmp_lt_u64_e32 vcc_lo, 0xffffff, v[44:45]
	v_add_nc_u32_e32 v5, 15, v17
	v_cndmask_b32_e64 v17, 0, 1, vcc_lo
	v_cndmask_b32_e32 v5, v46, v5, vcc_lo
	s_delay_alu instid0(VALU_DEP_2)
	v_lshrrev_b64 v[44:45], v17, v[44:45]
; %bb.703:                              ;   in Loop: Header=BB4_380 Depth=3
	s_and_not1_saveexec_b32 s8, s8
; %bb.704:                              ;   in Loop: Header=BB4_380 Depth=3
	s_delay_alu instid0(VALU_DEP_1)
	v_bfe_u32 v5, v44, 23, 1
; %bb.705:                              ;   in Loop: Header=BB4_380 Depth=3
	s_or_b32 exec_lo, exec_lo, s8
	s_delay_alu instid0(VALU_DEP_2) | instskip(NEXT) | instid1(VALU_DEP_2)
	v_lshrrev_b64 v[44:45], 21, v[44:45]
	v_cmp_gt_i32_e32 vcc_lo, 32, v5
	v_min_i32_e32 v17, 31, v5
	v_cmp_eq_u32_e64 s8, 0, v5
	s_delay_alu instid0(VALU_DEP_2) | instskip(SKIP_1) | instid1(VALU_DEP_2)
	v_dual_cndmask_b32 v44, 3, v44 :: v_dual_lshlrev_b32 v17, 2, v17
	v_cndmask_b32_e32 v45, 0, v45, vcc_lo
	v_and_b32_e32 v17, 0xfc, v17
	s_delay_alu instid0(VALU_DEP_2) | instskip(NEXT) | instid1(VALU_DEP_2)
	v_cmp_eq_u64_e32 vcc_lo, 0, v[44:45]
	v_and_or_b32 v5, v44, 3, v17
	s_and_b32 s8, s8, vcc_lo
	s_delay_alu instid0(VALU_DEP_1) | instid1(SALU_CYCLE_1)
	v_cndmask_b32_e64 v5, v5, 0, s8
	s_delay_alu instid0(VALU_DEP_1)
	v_or_b32_e32 v75, v5, v2
.LBB4_706:                              ;   in Loop: Header=BB4_380 Depth=3
	s_or_b32 exec_lo, exec_lo, s23
                                        ; implicit-def: $vgpr2
.LBB4_707:                              ;   in Loop: Header=BB4_380 Depth=3
	s_and_not1_saveexec_b32 s8, s22
; %bb.708:                              ;   in Loop: Header=BB4_380 Depth=3
	v_or_b32_e32 v75, 0x7b, v2
; %bb.709:                              ;   in Loop: Header=BB4_380 Depth=3
	s_or_b32 exec_lo, exec_lo, s8
                                        ; implicit-def: $vgpr5
                                        ; implicit-def: $vgpr44_vgpr45
                                        ; implicit-def: $vgpr2
.LBB4_710:                              ;   in Loop: Header=BB4_380 Depth=3
	s_and_not1_saveexec_b32 s8, s21
	s_cbranch_execz .LBB4_716
; %bb.711:                              ;   in Loop: Header=BB4_380 Depth=3
	s_mov_b32 s21, exec_lo
                                        ; implicit-def: $vgpr75
	v_cmpx_ne_u64_e32 0, v[44:45]
	s_xor_b32 s21, exec_lo, s21
; %bb.712:                              ;   in Loop: Header=BB4_380 Depth=3
	v_or_b32_e32 v75, 0x7f, v2
                                        ; implicit-def: $vgpr5
; %bb.713:                              ;   in Loop: Header=BB4_380 Depth=3
	s_and_not1_saveexec_b32 s21, s21
; %bb.714:                              ;   in Loop: Header=BB4_380 Depth=3
	v_cmp_lt_i32_e32 vcc_lo, -1, v5
	v_cndmask_b32_e32 v75, 0xfc, v59, vcc_lo
; %bb.715:                              ;   in Loop: Header=BB4_380 Depth=3
	s_or_b32 exec_lo, exec_lo, s21
.LBB4_716:                              ;   in Loop: Header=BB4_380 Depth=3
	s_delay_alu instid0(SALU_CYCLE_1) | instskip(SKIP_3) | instid1(VALU_DEP_2)
	s_or_b32 exec_lo, exec_lo, s8
	v_dual_mov_b32 v17, 0 :: v_dual_lshrrev_b32 v2, 16, v16
	v_mov_b32_e32 v5, 0
	s_mov_b32 s8, exec_lo
	v_and_b32_e32 v44, 0xff, v2
	s_delay_alu instid0(VALU_DEP_1)
	v_cmpx_ne_u16_e32 0, v44
	s_cbranch_execz .LBB4_726
; %bb.717:                              ;   in Loop: Header=BB4_380 Depth=3
	v_bfrev_b32_e32 v5, 1
	s_mov_b32 s21, exec_lo
	v_cmpx_ne_u16_e32 0x80, v44
	s_cbranch_execz .LBB4_725
; %bb.718:                              ;   in Loop: Header=BB4_380 Depth=3
	v_and_b32_e32 v5, 0x7c0000, v16
	v_bfe_u32 v44, v16, 16, 2
	s_delay_alu instid0(VALU_DEP_2) | instskip(SKIP_1) | instid1(SALU_CYCLE_1)
	v_cmp_ne_u32_e32 vcc_lo, 0x7c0000, v5
                                        ; implicit-def: $vgpr5
	s_and_saveexec_b32 s22, vcc_lo
	s_xor_b32 s22, exec_lo, s22
	s_cbranch_execz .LBB4_722
; %bb.719:                              ;   in Loop: Header=BB4_380 Depth=3
	v_bfe_u32 v5, v16, 18, 5
	s_mov_b32 s23, exec_lo
	s_delay_alu instid0(VALU_DEP_1)
	v_cmpx_eq_u32_e32 0, v5
; %bb.720:                              ;   in Loop: Header=BB4_380 Depth=3
	v_clz_i32_u32_e32 v5, v44
	s_delay_alu instid0(VALU_DEP_1) | instskip(NEXT) | instid1(VALU_DEP_1)
	v_min_u32_e32 v5, 32, v5
	v_subrev_nc_u32_e32 v44, 29, v5
	s_delay_alu instid0(VALU_DEP_1) | instskip(NEXT) | instid1(VALU_DEP_1)
	v_lshlrev_b64_e32 v[44:45], v44, v[2:3]
	v_dual_sub_nc_u32 v5, 30, v5 :: v_dual_bitop2_b32 v44, 3, v44 bitop3:0x40
; %bb.721:                              ;   in Loop: Header=BB4_380 Depth=3
	s_or_b32 exec_lo, exec_lo, s23
	v_lshlrev_b32_e32 v2, 24, v2
	s_delay_alu instid0(VALU_DEP_1) | instskip(NEXT) | instid1(VALU_DEP_1)
	v_and_b32_e32 v2, 0x80000000, v2
	v_lshl_add_u32 v2, v5, 23, v2
	s_delay_alu instid0(VALU_DEP_1) | instskip(NEXT) | instid1(VALU_DEP_1)
	v_lshl_or_b32 v2, v44, 21, v2
                                        ; implicit-def: $vgpr44
	v_add_nc_u32_e32 v5, 0x38000000, v2
                                        ; implicit-def: $vgpr2
.LBB4_722:                              ;   in Loop: Header=BB4_380 Depth=3
	s_and_not1_saveexec_b32 s22, s22
; %bb.723:                              ;   in Loop: Header=BB4_380 Depth=3
	v_bfe_i32 v2, v2, 0, 8
	s_delay_alu instid0(VALU_DEP_1) | instskip(SKIP_2) | instid1(VALU_DEP_2)
	v_cmp_lt_i16_e32 vcc_lo, -1, v2
	v_cndmask_b32_e32 v2, 0xff800000, v21, vcc_lo
	v_cmp_eq_u32_e32 vcc_lo, 0, v44
	v_cndmask_b32_e32 v5, 0x7f800001, v2, vcc_lo
; %bb.724:                              ;   in Loop: Header=BB4_380 Depth=3
	s_or_b32 exec_lo, exec_lo, s22
.LBB4_725:                              ;   in Loop: Header=BB4_380 Depth=3
	s_delay_alu instid0(SALU_CYCLE_1)
	s_or_b32 exec_lo, exec_lo, s21
.LBB4_726:                              ;   in Loop: Header=BB4_380 Depth=3
	s_delay_alu instid0(SALU_CYCLE_1) | instskip(SKIP_2) | instid1(VALU_DEP_1)
	s_or_b32 exec_lo, exec_lo, s8
	v_lshrrev_b32_e32 v2, 16, v4
	s_mov_b32 s8, exec_lo
	v_and_b32_e32 v44, 0xff, v2
	s_delay_alu instid0(VALU_DEP_1)
	v_cmpx_ne_u16_e32 0, v44
	s_cbranch_execz .LBB4_736
; %bb.727:                              ;   in Loop: Header=BB4_380 Depth=3
	v_bfrev_b32_e32 v17, 1
	s_mov_b32 s21, exec_lo
	v_cmpx_ne_u16_e32 0x80, v44
	s_cbranch_execz .LBB4_735
; %bb.728:                              ;   in Loop: Header=BB4_380 Depth=3
	v_and_b32_e32 v17, 0x7c0000, v4
	v_bfe_u32 v44, v4, 16, 2
	s_delay_alu instid0(VALU_DEP_2) | instskip(SKIP_1) | instid1(SALU_CYCLE_1)
	v_cmp_ne_u32_e32 vcc_lo, 0x7c0000, v17
                                        ; implicit-def: $vgpr17
	s_and_saveexec_b32 s22, vcc_lo
	s_xor_b32 s22, exec_lo, s22
	s_cbranch_execz .LBB4_732
; %bb.729:                              ;   in Loop: Header=BB4_380 Depth=3
	v_bfe_u32 v17, v4, 18, 5
	v_lshrrev_b32_e32 v2, 16, v4
	s_mov_b32 s23, exec_lo
	s_delay_alu instid0(VALU_DEP_2)
	v_cmpx_eq_u32_e32 0, v17
; %bb.730:                              ;   in Loop: Header=BB4_380 Depth=3
	v_clz_i32_u32_e32 v17, v44
	s_delay_alu instid0(VALU_DEP_1) | instskip(NEXT) | instid1(VALU_DEP_1)
	v_min_u32_e32 v17, 32, v17
	v_subrev_nc_u32_e32 v44, 29, v17
	s_delay_alu instid0(VALU_DEP_1) | instskip(NEXT) | instid1(VALU_DEP_1)
	v_lshlrev_b64_e32 v[44:45], v44, v[2:3]
	v_dual_sub_nc_u32 v17, 30, v17 :: v_dual_bitop2_b32 v44, 3, v44 bitop3:0x40
; %bb.731:                              ;   in Loop: Header=BB4_380 Depth=3
	s_or_b32 exec_lo, exec_lo, s23
	v_lshlrev_b32_e32 v2, 24, v2
	s_delay_alu instid0(VALU_DEP_1) | instskip(NEXT) | instid1(VALU_DEP_1)
	v_and_b32_e32 v2, 0x80000000, v2
	v_lshl_add_u32 v2, v17, 23, v2
	s_delay_alu instid0(VALU_DEP_1) | instskip(NEXT) | instid1(VALU_DEP_1)
	v_lshl_or_b32 v2, v44, 21, v2
                                        ; implicit-def: $vgpr44
	v_add_nc_u32_e32 v17, 0x38000000, v2
                                        ; implicit-def: $vgpr2
.LBB4_732:                              ;   in Loop: Header=BB4_380 Depth=3
	s_and_not1_saveexec_b32 s22, s22
; %bb.733:                              ;   in Loop: Header=BB4_380 Depth=3
	v_bfe_i32 v2, v2, 0, 8
	s_delay_alu instid0(VALU_DEP_1) | instskip(SKIP_2) | instid1(VALU_DEP_2)
	v_cmp_lt_i16_e32 vcc_lo, -1, v2
	v_cndmask_b32_e32 v2, 0xff800000, v21, vcc_lo
	v_cmp_eq_u32_e32 vcc_lo, 0, v44
	v_cndmask_b32_e32 v17, 0x7f800001, v2, vcc_lo
; %bb.734:                              ;   in Loop: Header=BB4_380 Depth=3
	s_or_b32 exec_lo, exec_lo, s22
.LBB4_735:                              ;   in Loop: Header=BB4_380 Depth=3
	s_delay_alu instid0(SALU_CYCLE_1)
	s_or_b32 exec_lo, exec_lo, s21
.LBB4_736:                              ;   in Loop: Header=BB4_380 Depth=3
	s_delay_alu instid0(SALU_CYCLE_1) | instskip(NEXT) | instid1(VALU_DEP_1)
	s_or_b32 exec_lo, exec_lo, s8
	v_add_f32_e32 v5, v5, v17
	v_dual_mov_b32 v47, v65 :: v_dual_mov_b32 v45, v65
	s_delay_alu instid0(VALU_DEP_2) | instskip(SKIP_2) | instid1(VALU_DEP_3)
	v_and_b32_e32 v46, 0x7f800000, v5
	v_and_b32_e32 v44, 0x7fffff, v5
	v_lshrrev_b32_e32 v2, 24, v5
	v_cmp_ne_u64_e32 vcc_lo, 0x7f800000, v[46:47]
                                        ; implicit-def: $vgpr46
	s_and_saveexec_b32 s8, vcc_lo
	s_delay_alu instid0(SALU_CYCLE_1)
	s_xor_b32 s21, exec_lo, s8
	s_cbranch_execz .LBB4_750
; %bb.737:                              ;   in Loop: Header=BB4_380 Depth=3
	v_and_b32_e32 v46, 0x7fffffff, v5
	v_mov_b32_e32 v47, v65
	v_and_b32_e32 v2, 0x80, v2
	s_delay_alu instid0(VALU_DEP_2) | instskip(SKIP_1) | instid1(SALU_CYCLE_1)
	v_cmp_gt_u64_e32 vcc_lo, 0x47600001, v[46:47]
                                        ; implicit-def: $vgpr46
	s_and_saveexec_b32 s8, vcc_lo
	s_xor_b32 s22, exec_lo, s8
	s_cbranch_execz .LBB4_747
; %bb.738:                              ;   in Loop: Header=BB4_380 Depth=3
	v_mov_b32_e32 v46, 0
	s_mov_b32 s23, exec_lo
	v_cmpx_ne_u32_e32 0, v5
	s_cbranch_execz .LBB4_746
; %bb.739:                              ;   in Loop: Header=BB4_380 Depth=3
	v_bfe_u32 v5, v5, 23, 8
	v_or_b32_e32 v79, 0x800000, v44
	s_delay_alu instid0(VALU_DEP_2) | instskip(SKIP_1) | instid1(VALU_DEP_2)
	v_sub_nc_u32_e32 v17, 0x71, v5
	v_cmp_gt_u32_e32 vcc_lo, 0x72, v5
	v_cndmask_b32_e32 v17, 0, v17, vcc_lo
	v_cmp_eq_u32_e32 vcc_lo, 0, v5
	s_delay_alu instid0(VALU_DEP_2) | instskip(NEXT) | instid1(VALU_DEP_1)
	v_cndmask_b32_e64 v17, v17, 0x70, vcc_lo
	v_dual_cndmask_b32 v44, v79, v44, vcc_lo :: v_dual_add_nc_u32 v46, 21, v17
	v_add_nc_u32_e32 v88, 20, v17
	s_delay_alu instid0(VALU_DEP_2) | instskip(NEXT) | instid1(VALU_DEP_2)
	v_lshlrev_b64_e64 v[46:47], v46, -1
	v_lshlrev_b64_e64 v[88:89], v88, 1
	s_delay_alu instid0(VALU_DEP_2) | instskip(SKIP_1) | instid1(VALU_DEP_4)
	v_bfi_b32 v46, v46, 0, v44
	v_lshrrev_b64 v[44:45], v17, v[44:45]
	v_bfi_b32 v47, v47, 0, 0
	s_delay_alu instid0(VALU_DEP_1) | instskip(NEXT) | instid1(VALU_DEP_3)
	v_cmp_eq_u64_e64 s8, v[46:47], v[88:89]
	v_mov_b64_e32 v[46:47], v[44:45]
	s_and_saveexec_b32 s24, s8
; %bb.740:                              ;   in Loop: Header=BB4_380 Depth=3
	v_bfe_u32 v46, v44, 21, 1
	v_mov_b32_e32 v47, v65
	s_delay_alu instid0(VALU_DEP_1) | instskip(NEXT) | instid1(VALU_DEP_1)
	v_add_nc_u64_e32 v[46:47], v[44:45], v[46:47]
	v_add_nc_u64_e32 v[46:47], -1, v[46:47]
; %bb.741:                              ;   in Loop: Header=BB4_380 Depth=3
	s_or_b32 exec_lo, exec_lo, s24
	v_add_nc_u32_e32 v5, 0xffffff81, v5
	v_lshrrev_b32_e32 v45, 23, v44
	s_mov_b32 s8, exec_lo
	s_delay_alu instid0(VALU_DEP_2) | instskip(NEXT) | instid1(VALU_DEP_1)
	v_cndmask_b32_e64 v5, v5, 0xffffff82, vcc_lo
	v_add3_u32 v17, v17, v5, v45
	v_and_b32_e32 v5, 0x1fffff, v46
	s_delay_alu instid0(VALU_DEP_2) | instskip(NEXT) | instid1(VALU_DEP_2)
	v_dual_mov_b32 v45, v65 :: v_dual_add_nc_u32 v46, 14, v17
	v_add_nc_u32_e32 v44, v5, v44
                                        ; implicit-def: $vgpr5
	s_delay_alu instid0(VALU_DEP_2)
	v_cmpx_ne_u32_e32 0, v46
	s_xor_b32 s8, exec_lo, s8
; %bb.742:                              ;   in Loop: Header=BB4_380 Depth=3
	s_delay_alu instid0(VALU_DEP_2) | instskip(SKIP_2) | instid1(VALU_DEP_2)
	v_cmp_lt_u64_e32 vcc_lo, 0xffffff, v[44:45]
	v_add_nc_u32_e32 v5, 15, v17
	v_cndmask_b32_e64 v17, 0, 1, vcc_lo
	v_cndmask_b32_e32 v5, v46, v5, vcc_lo
	s_delay_alu instid0(VALU_DEP_2)
	v_lshrrev_b64 v[44:45], v17, v[44:45]
; %bb.743:                              ;   in Loop: Header=BB4_380 Depth=3
	s_and_not1_saveexec_b32 s8, s8
; %bb.744:                              ;   in Loop: Header=BB4_380 Depth=3
	s_delay_alu instid0(VALU_DEP_1)
	v_bfe_u32 v5, v44, 23, 1
; %bb.745:                              ;   in Loop: Header=BB4_380 Depth=3
	s_or_b32 exec_lo, exec_lo, s8
	s_delay_alu instid0(VALU_DEP_2) | instskip(NEXT) | instid1(VALU_DEP_2)
	v_lshrrev_b64 v[44:45], 21, v[44:45]
	v_cmp_gt_i32_e32 vcc_lo, 32, v5
	v_min_i32_e32 v17, 31, v5
	v_cmp_eq_u32_e64 s8, 0, v5
	s_delay_alu instid0(VALU_DEP_2) | instskip(SKIP_1) | instid1(VALU_DEP_2)
	v_dual_cndmask_b32 v44, 3, v44 :: v_dual_lshlrev_b32 v17, 2, v17
	v_cndmask_b32_e32 v45, 0, v45, vcc_lo
	v_and_b32_e32 v17, 0xfc, v17
	s_delay_alu instid0(VALU_DEP_2) | instskip(NEXT) | instid1(VALU_DEP_2)
	v_cmp_eq_u64_e32 vcc_lo, 0, v[44:45]
	v_and_or_b32 v5, v44, 3, v17
	s_and_b32 s8, s8, vcc_lo
	s_delay_alu instid0(VALU_DEP_1) | instid1(SALU_CYCLE_1)
	v_cndmask_b32_e64 v5, v5, 0, s8
	s_delay_alu instid0(VALU_DEP_1)
	v_or_b32_e32 v46, v5, v2
.LBB4_746:                              ;   in Loop: Header=BB4_380 Depth=3
	s_or_b32 exec_lo, exec_lo, s23
                                        ; implicit-def: $vgpr2
.LBB4_747:                              ;   in Loop: Header=BB4_380 Depth=3
	s_and_not1_saveexec_b32 s8, s22
; %bb.748:                              ;   in Loop: Header=BB4_380 Depth=3
	v_or_b32_e32 v46, 0x7b, v2
; %bb.749:                              ;   in Loop: Header=BB4_380 Depth=3
	s_or_b32 exec_lo, exec_lo, s8
                                        ; implicit-def: $vgpr5
                                        ; implicit-def: $vgpr44_vgpr45
                                        ; implicit-def: $vgpr2
.LBB4_750:                              ;   in Loop: Header=BB4_380 Depth=3
	s_and_not1_saveexec_b32 s8, s21
	s_cbranch_execz .LBB4_756
; %bb.751:                              ;   in Loop: Header=BB4_380 Depth=3
	s_mov_b32 s21, exec_lo
                                        ; implicit-def: $vgpr46
	v_cmpx_ne_u64_e32 0, v[44:45]
	s_xor_b32 s21, exec_lo, s21
; %bb.752:                              ;   in Loop: Header=BB4_380 Depth=3
	v_or_b32_e32 v46, 0x7f, v2
                                        ; implicit-def: $vgpr5
; %bb.753:                              ;   in Loop: Header=BB4_380 Depth=3
	s_and_not1_saveexec_b32 s21, s21
; %bb.754:                              ;   in Loop: Header=BB4_380 Depth=3
	v_cmp_lt_i32_e32 vcc_lo, -1, v5
	v_cndmask_b32_e32 v46, 0xfc, v59, vcc_lo
; %bb.755:                              ;   in Loop: Header=BB4_380 Depth=3
	s_or_b32 exec_lo, exec_lo, s21
.LBB4_756:                              ;   in Loop: Header=BB4_380 Depth=3
	s_delay_alu instid0(SALU_CYCLE_1)
	s_or_b32 exec_lo, exec_lo, s8
	v_dual_mov_b32 v17, 0 :: v_dual_mov_b32 v44, 0
	s_mov_b32 s8, exec_lo
	v_cmpx_lt_u32_e32 0xffffff, v16
	s_cbranch_execz .LBB4_766
; %bb.757:                              ;   in Loop: Header=BB4_380 Depth=3
	v_lshrrev_b32_e32 v2, 24, v16
	v_bfrev_b32_e32 v44, 1
	s_mov_b32 s21, exec_lo
	s_delay_alu instid0(VALU_DEP_2)
	v_cmpx_ne_u32_e32 0x80, v2
	s_cbranch_execz .LBB4_765
; %bb.758:                              ;   in Loop: Header=BB4_380 Depth=3
	v_and_b32_e32 v44, 0x7c000000, v16
	v_bfe_u32 v5, v16, 24, 2
	s_delay_alu instid0(VALU_DEP_2) | instskip(SKIP_1) | instid1(SALU_CYCLE_1)
	v_cmp_ne_u32_e32 vcc_lo, 0x7c000000, v44
                                        ; implicit-def: $vgpr44
	s_and_saveexec_b32 s22, vcc_lo
	s_xor_b32 s22, exec_lo, s22
	s_cbranch_execz .LBB4_762
; %bb.759:                              ;   in Loop: Header=BB4_380 Depth=3
	v_bfe_u32 v44, v16, 26, 5
	s_mov_b32 s23, exec_lo
	s_delay_alu instid0(VALU_DEP_1)
	v_cmpx_eq_u32_e32 0, v44
; %bb.760:                              ;   in Loop: Header=BB4_380 Depth=3
	v_clz_i32_u32_e32 v5, v5
	s_delay_alu instid0(VALU_DEP_1) | instskip(NEXT) | instid1(VALU_DEP_1)
	v_min_u32_e32 v5, 32, v5
	v_subrev_nc_u32_e32 v44, 29, v5
	s_delay_alu instid0(VALU_DEP_1) | instskip(NEXT) | instid1(VALU_DEP_1)
	v_lshlrev_b64_e32 v[88:89], v44, v[2:3]
	v_dual_sub_nc_u32 v44, 30, v5 :: v_dual_bitop2_b32 v5, 3, v88 bitop3:0x40
; %bb.761:                              ;   in Loop: Header=BB4_380 Depth=3
	s_or_b32 exec_lo, exec_lo, s23
	v_and_b32_e32 v2, 0x80000000, v16
	s_delay_alu instid0(VALU_DEP_1) | instskip(NEXT) | instid1(VALU_DEP_1)
	v_lshl_add_u32 v2, v44, 23, v2
	v_lshl_or_b32 v2, v5, 21, v2
                                        ; implicit-def: $vgpr5
	s_delay_alu instid0(VALU_DEP_1)
	v_add_nc_u32_e32 v44, 0x38000000, v2
.LBB4_762:                              ;   in Loop: Header=BB4_380 Depth=3
	s_and_not1_saveexec_b32 s22, s22
; %bb.763:                              ;   in Loop: Header=BB4_380 Depth=3
	v_cmp_lt_i32_e32 vcc_lo, -1, v16
	v_cndmask_b32_e32 v2, 0xff800000, v21, vcc_lo
	v_cmp_eq_u32_e32 vcc_lo, 0, v5
	s_delay_alu instid0(VALU_DEP_2)
	v_cndmask_b32_e32 v44, 0x7f800001, v2, vcc_lo
; %bb.764:                              ;   in Loop: Header=BB4_380 Depth=3
	s_or_b32 exec_lo, exec_lo, s22
.LBB4_765:                              ;   in Loop: Header=BB4_380 Depth=3
	s_delay_alu instid0(SALU_CYCLE_1)
	s_or_b32 exec_lo, exec_lo, s21
.LBB4_766:                              ;   in Loop: Header=BB4_380 Depth=3
	s_delay_alu instid0(SALU_CYCLE_1) | instskip(NEXT) | instid1(SALU_CYCLE_1)
	s_or_b32 exec_lo, exec_lo, s8
	s_mov_b32 s8, exec_lo
	v_cmpx_lt_u32_e32 0xffffff, v4
	s_cbranch_execz .LBB4_776
; %bb.767:                              ;   in Loop: Header=BB4_380 Depth=3
	v_lshrrev_b32_e32 v2, 24, v4
	v_bfrev_b32_e32 v17, 1
	s_mov_b32 s21, exec_lo
	s_delay_alu instid0(VALU_DEP_2)
	v_cmpx_ne_u32_e32 0x80, v2
	s_cbranch_execz .LBB4_775
; %bb.768:                              ;   in Loop: Header=BB4_380 Depth=3
	v_and_b32_e32 v5, 0x7c000000, v4
	v_bfe_u32 v16, v4, 24, 2
	s_mov_b32 s22, exec_lo
                                        ; implicit-def: $vgpr17
	s_delay_alu instid0(VALU_DEP_2)
	v_cmpx_ne_u32_e32 0x7c000000, v5
	s_xor_b32 s22, exec_lo, s22
	s_cbranch_execz .LBB4_772
; %bb.769:                              ;   in Loop: Header=BB4_380 Depth=3
	v_bfe_u32 v5, v4, 26, 5
	s_mov_b32 s23, exec_lo
	s_delay_alu instid0(VALU_DEP_1)
	v_cmpx_eq_u32_e32 0, v5
; %bb.770:                              ;   in Loop: Header=BB4_380 Depth=3
	v_clz_i32_u32_e32 v5, v16
	s_delay_alu instid0(VALU_DEP_1) | instskip(NEXT) | instid1(VALU_DEP_1)
	v_min_u32_e32 v5, 32, v5
	v_subrev_nc_u32_e32 v16, 29, v5
	s_delay_alu instid0(VALU_DEP_1) | instskip(NEXT) | instid1(VALU_DEP_1)
	v_lshlrev_b64_e32 v[16:17], v16, v[2:3]
	v_dual_sub_nc_u32 v5, 30, v5 :: v_dual_bitop2_b32 v16, 3, v16 bitop3:0x40
; %bb.771:                              ;   in Loop: Header=BB4_380 Depth=3
	s_or_b32 exec_lo, exec_lo, s23
	v_and_b32_e32 v2, 0x80000000, v4
	s_delay_alu instid0(VALU_DEP_1) | instskip(NEXT) | instid1(VALU_DEP_1)
	v_lshl_add_u32 v2, v5, 23, v2
                                        ; implicit-def: $vgpr4_vgpr5
	v_lshl_or_b32 v2, v16, 21, v2
                                        ; implicit-def: $vgpr16
	s_delay_alu instid0(VALU_DEP_1)
	v_add_nc_u32_e32 v17, 0x38000000, v2
.LBB4_772:                              ;   in Loop: Header=BB4_380 Depth=3
	s_and_not1_saveexec_b32 s22, s22
; %bb.773:                              ;   in Loop: Header=BB4_380 Depth=3
	v_cmp_lt_i32_e32 vcc_lo, -1, v4
	v_cndmask_b32_e32 v2, 0xff800000, v21, vcc_lo
	v_cmp_eq_u32_e32 vcc_lo, 0, v16
	s_delay_alu instid0(VALU_DEP_2)
	v_cndmask_b32_e32 v17, 0x7f800001, v2, vcc_lo
; %bb.774:                              ;   in Loop: Header=BB4_380 Depth=3
	s_or_b32 exec_lo, exec_lo, s22
.LBB4_775:                              ;   in Loop: Header=BB4_380 Depth=3
	s_delay_alu instid0(SALU_CYCLE_1)
	s_or_b32 exec_lo, exec_lo, s21
.LBB4_776:                              ;   in Loop: Header=BB4_380 Depth=3
	s_delay_alu instid0(SALU_CYCLE_1) | instskip(NEXT) | instid1(VALU_DEP_1)
	s_or_b32 exec_lo, exec_lo, s8
	v_dual_add_f32 v16, v44, v17 :: v_dual_mov_b32 v45, v65
	v_mov_b32_e32 v5, v65
                                        ; implicit-def: $vgpr47
	s_mov_b32 s8, exec_lo
	s_delay_alu instid0(VALU_DEP_2) | instskip(SKIP_2) | instid1(VALU_DEP_3)
	v_and_b32_e32 v44, 0x7f800000, v16
	v_and_b32_e32 v4, 0x7fffff, v16
	v_lshrrev_b32_e32 v2, 24, v16
	v_cmpx_ne_u64_e32 0x7f800000, v[44:45]
	s_xor_b32 s21, exec_lo, s8
	s_cbranch_execz .LBB4_790
; %bb.777:                              ;   in Loop: Header=BB4_380 Depth=3
	v_and_b32_e32 v44, 0x7fffffff, v16
	v_mov_b32_e32 v45, v65
	v_and_b32_e32 v2, 0x80, v2
                                        ; implicit-def: $vgpr47
	s_mov_b32 s8, exec_lo
	s_delay_alu instid0(VALU_DEP_2)
	v_cmpx_gt_u64_e32 0x47600001, v[44:45]
	s_xor_b32 s22, exec_lo, s8
	s_cbranch_execz .LBB4_787
; %bb.778:                              ;   in Loop: Header=BB4_380 Depth=3
	v_mov_b32_e32 v47, 0
	s_mov_b32 s23, exec_lo
	v_cmpx_ne_u32_e32 0, v16
	s_cbranch_execz .LBB4_786
; %bb.779:                              ;   in Loop: Header=BB4_380 Depth=3
	v_bfe_u32 v44, v16, 23, 8
	v_or_b32_e32 v47, 0x800000, v4
	s_delay_alu instid0(VALU_DEP_2) | instskip(SKIP_1) | instid1(VALU_DEP_2)
	v_sub_nc_u32_e32 v16, 0x71, v44
	v_cmp_gt_u32_e32 vcc_lo, 0x72, v44
	v_cndmask_b32_e32 v16, 0, v16, vcc_lo
	v_cmp_eq_u32_e32 vcc_lo, 0, v44
	s_delay_alu instid0(VALU_DEP_2) | instskip(NEXT) | instid1(VALU_DEP_1)
	v_cndmask_b32_e64 v45, v16, 0x70, vcc_lo
	v_dual_cndmask_b32 v4, v47, v4, vcc_lo :: v_dual_add_nc_u32 v16, 21, v45
	v_add_nc_u32_e32 v79, 20, v45
	s_delay_alu instid0(VALU_DEP_2) | instskip(NEXT) | instid1(VALU_DEP_2)
	v_lshlrev_b64_e64 v[16:17], v16, -1
	v_lshlrev_b64_e64 v[88:89], v79, 1
	s_delay_alu instid0(VALU_DEP_2) | instskip(SKIP_1) | instid1(VALU_DEP_4)
	v_bfi_b32 v16, v16, 0, v4
	v_lshrrev_b64 v[4:5], v45, v[4:5]
	v_bfi_b32 v17, v17, 0, 0
	s_delay_alu instid0(VALU_DEP_1) | instskip(NEXT) | instid1(VALU_DEP_3)
	v_cmp_eq_u64_e64 s8, v[16:17], v[88:89]
	v_mov_b64_e32 v[16:17], v[4:5]
	s_and_saveexec_b32 s24, s8
; %bb.780:                              ;   in Loop: Header=BB4_380 Depth=3
	v_bfe_u32 v16, v4, 21, 1
	v_mov_b32_e32 v17, v65
	s_delay_alu instid0(VALU_DEP_1) | instskip(NEXT) | instid1(VALU_DEP_1)
	v_add_nc_u64_e32 v[16:17], v[4:5], v[16:17]
	v_add_nc_u64_e32 v[16:17], -1, v[16:17]
; %bb.781:                              ;   in Loop: Header=BB4_380 Depth=3
	s_or_b32 exec_lo, exec_lo, s24
	v_add_nc_u32_e32 v5, 0xffffff81, v44
	v_lshrrev_b32_e32 v17, 23, v4
	s_mov_b32 s8, exec_lo
	s_delay_alu instid0(VALU_DEP_2) | instskip(NEXT) | instid1(VALU_DEP_1)
	v_cndmask_b32_e64 v5, v5, 0xffffff82, vcc_lo
	v_add3_u32 v17, v45, v5, v17
	v_and_b32_e32 v5, 0x1fffff, v16
                                        ; implicit-def: $vgpr16
	s_delay_alu instid0(VALU_DEP_1) | instskip(SKIP_1) | instid1(VALU_DEP_2)
	v_dual_add_nc_u32 v44, 14, v17 :: v_dual_add_nc_u32 v4, v5, v4
	v_mov_b32_e32 v5, v65
	v_cmpx_ne_u32_e32 0, v44
	s_xor_b32 s8, exec_lo, s8
; %bb.782:                              ;   in Loop: Header=BB4_380 Depth=3
	s_delay_alu instid0(VALU_DEP_2) | instskip(SKIP_2) | instid1(VALU_DEP_2)
	v_cmp_lt_u64_e32 vcc_lo, 0xffffff, v[4:5]
	v_add_nc_u32_e32 v16, 15, v17
	v_cndmask_b32_e64 v17, 0, 1, vcc_lo
	v_cndmask_b32_e32 v16, v44, v16, vcc_lo
	s_delay_alu instid0(VALU_DEP_2)
	v_lshrrev_b64 v[4:5], v17, v[4:5]
; %bb.783:                              ;   in Loop: Header=BB4_380 Depth=3
	s_and_not1_saveexec_b32 s8, s8
; %bb.784:                              ;   in Loop: Header=BB4_380 Depth=3
	s_delay_alu instid0(VALU_DEP_1)
	v_bfe_u32 v16, v4, 23, 1
; %bb.785:                              ;   in Loop: Header=BB4_380 Depth=3
	s_or_b32 exec_lo, exec_lo, s8
	s_delay_alu instid0(VALU_DEP_2) | instskip(NEXT) | instid1(VALU_DEP_2)
	v_lshrrev_b64 v[4:5], 21, v[4:5]
	v_cmp_gt_i32_e32 vcc_lo, 32, v16
	v_min_i32_e32 v17, 31, v16
	v_cmp_eq_u32_e64 s8, 0, v16
	s_delay_alu instid0(VALU_DEP_4) | instskip(NEXT) | instid1(VALU_DEP_3)
	v_cndmask_b32_e32 v5, 0, v5, vcc_lo
	v_dual_cndmask_b32 v4, 3, v4 :: v_dual_lshlrev_b32 v17, 2, v17
	s_delay_alu instid0(VALU_DEP_1) | instskip(NEXT) | instid1(VALU_DEP_2)
	v_and_b32_e32 v17, 0xfc, v17
	v_cmp_eq_u64_e32 vcc_lo, 0, v[4:5]
	s_delay_alu instid0(VALU_DEP_2)
	v_and_or_b32 v4, v4, 3, v17
	s_and_b32 s8, s8, vcc_lo
	s_delay_alu instid0(VALU_DEP_1) | instid1(SALU_CYCLE_1)
	v_cndmask_b32_e64 v4, v4, 0, s8
	s_delay_alu instid0(VALU_DEP_1)
	v_or_b32_e32 v47, v4, v2
.LBB4_786:                              ;   in Loop: Header=BB4_380 Depth=3
	s_or_b32 exec_lo, exec_lo, s23
                                        ; implicit-def: $vgpr2
.LBB4_787:                              ;   in Loop: Header=BB4_380 Depth=3
	s_and_not1_saveexec_b32 s8, s22
; %bb.788:                              ;   in Loop: Header=BB4_380 Depth=3
	v_or_b32_e32 v47, 0x7b, v2
; %bb.789:                              ;   in Loop: Header=BB4_380 Depth=3
	s_or_b32 exec_lo, exec_lo, s8
                                        ; implicit-def: $vgpr16
                                        ; implicit-def: $vgpr4_vgpr5
                                        ; implicit-def: $vgpr2
.LBB4_790:                              ;   in Loop: Header=BB4_380 Depth=3
	s_and_not1_saveexec_b32 s8, s21
	s_cbranch_execz .LBB4_796
; %bb.791:                              ;   in Loop: Header=BB4_380 Depth=3
	s_mov_b32 s21, exec_lo
                                        ; implicit-def: $vgpr47
	v_cmpx_ne_u64_e32 0, v[4:5]
	s_xor_b32 s21, exec_lo, s21
; %bb.792:                              ;   in Loop: Header=BB4_380 Depth=3
	v_or_b32_e32 v47, 0x7f, v2
                                        ; implicit-def: $vgpr16
; %bb.793:                              ;   in Loop: Header=BB4_380 Depth=3
	s_and_not1_saveexec_b32 s21, s21
; %bb.794:                              ;   in Loop: Header=BB4_380 Depth=3
	v_cmp_lt_i32_e32 vcc_lo, -1, v16
	v_cndmask_b32_e32 v47, 0xfc, v59, vcc_lo
; %bb.795:                              ;   in Loop: Header=BB4_380 Depth=3
	s_or_b32 exec_lo, exec_lo, s21
.LBB4_796:                              ;   in Loop: Header=BB4_380 Depth=3
	s_delay_alu instid0(SALU_CYCLE_1) | instskip(SKIP_3) | instid1(VALU_DEP_2)
	s_or_b32 exec_lo, exec_lo, s8
	v_and_b32_e32 v2, 0xff, v18
	v_dual_mov_b32 v16, 0 :: v_dual_mov_b32 v17, 0
	s_mov_b32 s8, exec_lo
	v_cmpx_ne_u16_e32 0, v2
	s_cbranch_execz .LBB4_806
; %bb.797:                              ;   in Loop: Header=BB4_380 Depth=3
	v_bfe_i32 v4, v18, 0, 8
	v_bfrev_b32_e32 v17, 1
	s_mov_b32 s21, exec_lo
	s_delay_alu instid0(VALU_DEP_2)
	v_cmpx_ne_u16_e32 0xff80, v4
	s_cbranch_execz .LBB4_805
; %bb.798:                              ;   in Loop: Header=BB4_380 Depth=3
	v_and_b32_e32 v5, 0x7c, v18
	v_and_b32_e32 v2, 3, v18
	s_mov_b32 s22, exec_lo
                                        ; implicit-def: $vgpr17
	s_delay_alu instid0(VALU_DEP_2)
	v_cmpx_ne_u32_e32 0x7c, v5
	s_xor_b32 s22, exec_lo, s22
	s_cbranch_execz .LBB4_802
; %bb.799:                              ;   in Loop: Header=BB4_380 Depth=3
	v_bfe_u32 v4, v18, 2, 5
	s_mov_b32 s23, exec_lo
	s_delay_alu instid0(VALU_DEP_1)
	v_cmpx_eq_u32_e32 0, v4
; %bb.800:                              ;   in Loop: Header=BB4_380 Depth=3
	v_clz_i32_u32_e32 v2, v2
	s_delay_alu instid0(VALU_DEP_1) | instskip(NEXT) | instid1(VALU_DEP_1)
	v_min_u32_e32 v2, 32, v2
	v_subrev_nc_u32_e32 v4, 29, v2
	s_delay_alu instid0(VALU_DEP_1) | instskip(NEXT) | instid1(VALU_DEP_1)
	v_lshlrev_b64_e32 v[44:45], v4, v[18:19]
	v_dual_sub_nc_u32 v4, 30, v2 :: v_dual_bitop2_b32 v2, 3, v44 bitop3:0x40
; %bb.801:                              ;   in Loop: Header=BB4_380 Depth=3
	s_or_b32 exec_lo, exec_lo, s23
	v_lshlrev_b32_e32 v5, 24, v18
	s_delay_alu instid0(VALU_DEP_1) | instskip(NEXT) | instid1(VALU_DEP_1)
	v_and_b32_e32 v5, 0x80000000, v5
	v_lshl_add_u32 v4, v4, 23, v5
	s_delay_alu instid0(VALU_DEP_1) | instskip(NEXT) | instid1(VALU_DEP_1)
	v_lshl_or_b32 v2, v2, 21, v4
                                        ; implicit-def: $vgpr4
	v_add_nc_u32_e32 v17, 0x38000000, v2
                                        ; implicit-def: $vgpr2
.LBB4_802:                              ;   in Loop: Header=BB4_380 Depth=3
	s_and_not1_saveexec_b32 s22, s22
; %bb.803:                              ;   in Loop: Header=BB4_380 Depth=3
	v_cmp_lt_i16_e32 vcc_lo, -1, v4
	v_cndmask_b32_e32 v4, 0xff800000, v21, vcc_lo
	v_cmp_eq_u32_e32 vcc_lo, 0, v2
	s_delay_alu instid0(VALU_DEP_2)
	v_cndmask_b32_e32 v17, 0x7f800001, v4, vcc_lo
; %bb.804:                              ;   in Loop: Header=BB4_380 Depth=3
	s_or_b32 exec_lo, exec_lo, s22
.LBB4_805:                              ;   in Loop: Header=BB4_380 Depth=3
	s_delay_alu instid0(SALU_CYCLE_1)
	s_or_b32 exec_lo, exec_lo, s21
.LBB4_806:                              ;   in Loop: Header=BB4_380 Depth=3
	s_delay_alu instid0(SALU_CYCLE_1) | instskip(SKIP_4) | instid1(VALU_DEP_2)
	s_or_b32 exec_lo, exec_lo, s8
	v_dual_lshlrev_b32 v4, 24, v78 :: v_dual_lshlrev_b32 v19, 16, v77
	v_lshl_or_b32 v2, v76, 8, v74
	v_mov_b32_e32 v5, v65
	s_mov_b32 s8, exec_lo
	v_or3_b32 v4, v19, v4, v2
	v_cmpx_ne_u32_e32 0, v74
	s_cbranch_execz .LBB4_816
; %bb.807:                              ;   in Loop: Header=BB4_380 Depth=3
	v_bfrev_b32_e32 v16, 1
	s_mov_b32 s21, exec_lo
	v_cmpx_ne_u32_e32 0x80, v74
	s_cbranch_execz .LBB4_815
; %bb.808:                              ;   in Loop: Header=BB4_380 Depth=3
	v_and_b32_e32 v16, 0x7c, v74
	v_and_b32_e32 v19, 3, v74
	s_delay_alu instid0(VALU_DEP_2) | instskip(SKIP_1) | instid1(SALU_CYCLE_1)
	v_cmp_ne_u32_e32 vcc_lo, 0x7c, v16
                                        ; implicit-def: $vgpr16
	s_and_saveexec_b32 s22, vcc_lo
	s_xor_b32 s22, exec_lo, s22
	s_cbranch_execz .LBB4_812
; %bb.809:                              ;   in Loop: Header=BB4_380 Depth=3
	v_bfe_u32 v16, v74, 2, 5
	s_mov_b32 s23, exec_lo
	s_delay_alu instid0(VALU_DEP_1)
	v_cmpx_eq_u32_e32 0, v16
; %bb.810:                              ;   in Loop: Header=BB4_380 Depth=3
	v_clz_i32_u32_e32 v16, v19
	s_delay_alu instid0(VALU_DEP_1) | instskip(NEXT) | instid1(VALU_DEP_1)
	v_min_u32_e32 v16, 32, v16
	v_subrev_nc_u32_e32 v19, 29, v16
	v_sub_nc_u32_e32 v16, 30, v16
	s_delay_alu instid0(VALU_DEP_2) | instskip(NEXT) | instid1(VALU_DEP_1)
	v_lshlrev_b64_e32 v[44:45], v19, v[4:5]
	v_and_b32_e32 v19, 3, v44
; %bb.811:                              ;   in Loop: Header=BB4_380 Depth=3
	s_or_b32 exec_lo, exec_lo, s23
	v_lshlrev_b32_e32 v5, 24, v74
                                        ; implicit-def: $vgpr74
	s_delay_alu instid0(VALU_DEP_1) | instskip(NEXT) | instid1(VALU_DEP_1)
	v_and_b32_e32 v5, 0x80000000, v5
	v_lshl_add_u32 v5, v16, 23, v5
	s_delay_alu instid0(VALU_DEP_1) | instskip(NEXT) | instid1(VALU_DEP_1)
	v_lshl_or_b32 v5, v19, 21, v5
                                        ; implicit-def: $vgpr19
	v_add_nc_u32_e32 v16, 0x38000000, v5
.LBB4_812:                              ;   in Loop: Header=BB4_380 Depth=3
	s_and_not1_saveexec_b32 s22, s22
; %bb.813:                              ;   in Loop: Header=BB4_380 Depth=3
	v_and_b32_e32 v5, 0x80, v74
	s_delay_alu instid0(VALU_DEP_1) | instskip(SKIP_2) | instid1(VALU_DEP_2)
	v_cmp_eq_u32_e32 vcc_lo, 0, v5
	v_cndmask_b32_e32 v5, 0xff800000, v21, vcc_lo
	v_cmp_eq_u32_e32 vcc_lo, 0, v19
	v_cndmask_b32_e32 v16, 0x7f800001, v5, vcc_lo
; %bb.814:                              ;   in Loop: Header=BB4_380 Depth=3
	s_or_b32 exec_lo, exec_lo, s22
.LBB4_815:                              ;   in Loop: Header=BB4_380 Depth=3
	s_delay_alu instid0(SALU_CYCLE_1)
	s_or_b32 exec_lo, exec_lo, s21
.LBB4_816:                              ;   in Loop: Header=BB4_380 Depth=3
	s_delay_alu instid0(SALU_CYCLE_1) | instskip(NEXT) | instid1(VALU_DEP_1)
	s_or_b32 exec_lo, exec_lo, s8
	v_add_f32_e32 v44, v17, v16
	v_dual_mov_b32 v77, v65 :: v_dual_mov_b32 v17, v65
                                        ; implicit-def: $vgpr19
	s_mov_b32 s8, exec_lo
	s_delay_alu instid0(VALU_DEP_2) | instskip(SKIP_2) | instid1(VALU_DEP_3)
	v_and_b32_e32 v76, 0x7f800000, v44
	v_and_b32_e32 v16, 0x7fffff, v44
	v_lshrrev_b32_e32 v5, 24, v44
	v_cmpx_ne_u64_e32 0x7f800000, v[76:77]
	s_xor_b32 s21, exec_lo, s8
	s_cbranch_execz .LBB4_830
; %bb.817:                              ;   in Loop: Header=BB4_380 Depth=3
	v_and_b32_e32 v76, 0x7fffffff, v44
	v_mov_b32_e32 v77, v65
	v_and_b32_e32 v5, 0x80, v5
                                        ; implicit-def: $vgpr19
	s_mov_b32 s8, exec_lo
	s_delay_alu instid0(VALU_DEP_2)
	v_cmpx_gt_u64_e32 0x47600001, v[76:77]
	s_xor_b32 s22, exec_lo, s8
	s_cbranch_execz .LBB4_827
; %bb.818:                              ;   in Loop: Header=BB4_380 Depth=3
	v_mov_b32_e32 v19, 0
	s_mov_b32 s23, exec_lo
	v_cmpx_ne_u32_e32 0, v44
	s_cbranch_execz .LBB4_826
; %bb.819:                              ;   in Loop: Header=BB4_380 Depth=3
	v_bfe_u32 v19, v44, 23, 8
	v_or_b32_e32 v76, 0x800000, v16
	s_delay_alu instid0(VALU_DEP_2) | instskip(SKIP_1) | instid1(VALU_DEP_2)
	v_sub_nc_u32_e32 v44, 0x71, v19
	v_cmp_gt_u32_e32 vcc_lo, 0x72, v19
	v_cndmask_b32_e32 v44, 0, v44, vcc_lo
	v_cmp_eq_u32_e32 vcc_lo, 0, v19
	s_delay_alu instid0(VALU_DEP_2) | instskip(NEXT) | instid1(VALU_DEP_1)
	v_cndmask_b32_e64 v74, v44, 0x70, vcc_lo
	v_dual_cndmask_b32 v16, v76, v16, vcc_lo :: v_dual_add_nc_u32 v44, 21, v74
	v_add_nc_u32_e32 v77, 20, v74
	s_delay_alu instid0(VALU_DEP_2) | instskip(NEXT) | instid1(VALU_DEP_2)
	v_lshlrev_b64_e64 v[44:45], v44, -1
	v_lshlrev_b64_e64 v[76:77], v77, 1
	s_delay_alu instid0(VALU_DEP_2) | instskip(SKIP_1) | instid1(VALU_DEP_4)
	v_bfi_b32 v44, v44, 0, v16
	v_lshrrev_b64 v[16:17], v74, v[16:17]
	v_bfi_b32 v45, v45, 0, 0
	s_delay_alu instid0(VALU_DEP_1) | instskip(NEXT) | instid1(VALU_DEP_3)
	v_cmp_eq_u64_e64 s8, v[44:45], v[76:77]
	v_mov_b64_e32 v[44:45], v[16:17]
	s_and_saveexec_b32 s24, s8
; %bb.820:                              ;   in Loop: Header=BB4_380 Depth=3
	v_bfe_u32 v44, v16, 21, 1
	v_mov_b32_e32 v45, v65
	s_delay_alu instid0(VALU_DEP_1) | instskip(NEXT) | instid1(VALU_DEP_1)
	v_add_nc_u64_e32 v[44:45], v[16:17], v[44:45]
	v_add_nc_u64_e32 v[44:45], -1, v[44:45]
; %bb.821:                              ;   in Loop: Header=BB4_380 Depth=3
	s_or_b32 exec_lo, exec_lo, s24
	v_add_nc_u32_e32 v17, 0xffffff81, v19
	v_lshrrev_b32_e32 v19, 23, v16
	s_mov_b32 s8, exec_lo
	s_delay_alu instid0(VALU_DEP_2) | instskip(NEXT) | instid1(VALU_DEP_1)
	v_cndmask_b32_e64 v17, v17, 0xffffff82, vcc_lo
	v_add3_u32 v45, v74, v17, v19
	v_and_b32_e32 v17, 0x1fffff, v44
                                        ; implicit-def: $vgpr19
	s_delay_alu instid0(VALU_DEP_1) | instskip(SKIP_1) | instid1(VALU_DEP_2)
	v_dual_add_nc_u32 v44, 14, v45 :: v_dual_add_nc_u32 v16, v17, v16
	v_mov_b32_e32 v17, v65
	v_cmpx_ne_u32_e32 0, v44
	s_xor_b32 s8, exec_lo, s8
; %bb.822:                              ;   in Loop: Header=BB4_380 Depth=3
	s_delay_alu instid0(VALU_DEP_2) | instskip(SKIP_1) | instid1(VALU_DEP_1)
	v_cmp_lt_u64_e32 vcc_lo, 0xffffff, v[16:17]
	v_add_nc_u32_e32 v19, 15, v45
	v_cndmask_b32_e32 v19, v44, v19, vcc_lo
	v_cndmask_b32_e64 v44, 0, 1, vcc_lo
	s_delay_alu instid0(VALU_DEP_1)
	v_lshrrev_b64 v[16:17], v44, v[16:17]
; %bb.823:                              ;   in Loop: Header=BB4_380 Depth=3
	s_and_not1_saveexec_b32 s8, s8
; %bb.824:                              ;   in Loop: Header=BB4_380 Depth=3
	s_delay_alu instid0(VALU_DEP_1)
	v_bfe_u32 v19, v16, 23, 1
; %bb.825:                              ;   in Loop: Header=BB4_380 Depth=3
	s_or_b32 exec_lo, exec_lo, s8
	s_delay_alu instid0(VALU_DEP_2) | instskip(NEXT) | instid1(VALU_DEP_2)
	v_lshrrev_b64 v[16:17], 21, v[16:17]
	v_cmp_gt_i32_e32 vcc_lo, 32, v19
	v_min_i32_e32 v44, 31, v19
	v_cmp_eq_u32_e64 s8, 0, v19
	s_delay_alu instid0(VALU_DEP_2) | instskip(SKIP_1) | instid1(VALU_DEP_2)
	v_dual_cndmask_b32 v17, 0, v17 :: v_dual_lshlrev_b32 v44, 2, v44
	v_cndmask_b32_e32 v16, 3, v16, vcc_lo
	v_and_b32_e32 v44, 0xfc, v44
	s_delay_alu instid0(VALU_DEP_2) | instskip(NEXT) | instid1(VALU_DEP_2)
	v_cmp_eq_u64_e32 vcc_lo, 0, v[16:17]
	v_and_or_b32 v16, v16, 3, v44
	s_and_b32 s8, s8, vcc_lo
	s_delay_alu instid0(VALU_DEP_1) | instid1(SALU_CYCLE_1)
	v_cndmask_b32_e64 v16, v16, 0, s8
	s_delay_alu instid0(VALU_DEP_1)
	v_or_b32_e32 v19, v16, v5
.LBB4_826:                              ;   in Loop: Header=BB4_380 Depth=3
	s_or_b32 exec_lo, exec_lo, s23
                                        ; implicit-def: $vgpr5
.LBB4_827:                              ;   in Loop: Header=BB4_380 Depth=3
	s_and_not1_saveexec_b32 s8, s22
; %bb.828:                              ;   in Loop: Header=BB4_380 Depth=3
	v_or_b32_e32 v19, 0x7b, v5
; %bb.829:                              ;   in Loop: Header=BB4_380 Depth=3
	s_or_b32 exec_lo, exec_lo, s8
                                        ; implicit-def: $vgpr44
                                        ; implicit-def: $vgpr16_vgpr17
                                        ; implicit-def: $vgpr5
.LBB4_830:                              ;   in Loop: Header=BB4_380 Depth=3
	s_and_not1_saveexec_b32 s8, s21
	s_cbranch_execz .LBB4_836
; %bb.831:                              ;   in Loop: Header=BB4_380 Depth=3
	s_mov_b32 s21, exec_lo
                                        ; implicit-def: $vgpr19
	v_cmpx_ne_u64_e32 0, v[16:17]
	s_xor_b32 s21, exec_lo, s21
; %bb.832:                              ;   in Loop: Header=BB4_380 Depth=3
	v_or_b32_e32 v19, 0x7f, v5
                                        ; implicit-def: $vgpr44
; %bb.833:                              ;   in Loop: Header=BB4_380 Depth=3
	s_and_not1_saveexec_b32 s21, s21
; %bb.834:                              ;   in Loop: Header=BB4_380 Depth=3
	v_cmp_lt_i32_e32 vcc_lo, -1, v44
	v_cndmask_b32_e32 v19, 0xfc, v59, vcc_lo
; %bb.835:                              ;   in Loop: Header=BB4_380 Depth=3
	s_or_b32 exec_lo, exec_lo, s21
.LBB4_836:                              ;   in Loop: Header=BB4_380 Depth=3
	s_delay_alu instid0(SALU_CYCLE_1) | instskip(SKIP_3) | instid1(VALU_DEP_2)
	s_or_b32 exec_lo, exec_lo, s8
	v_lshrrev_b16 v16, 8, v18
	v_dual_mov_b32 v5, 0 :: v_dual_mov_b32 v44, 0
	s_mov_b32 s8, exec_lo
	v_cmpx_ne_u16_e32 0, v16
	s_cbranch_execz .LBB4_846
; %bb.837:                              ;   in Loop: Header=BB4_380 Depth=3
	v_bfrev_b32_e32 v44, 1
	s_mov_b32 s21, exec_lo
	v_cmpx_ne_u16_e32 0x80, v16
	s_cbranch_execz .LBB4_845
; %bb.838:                              ;   in Loop: Header=BB4_380 Depth=3
	v_and_b32_e32 v45, 0xffff, v16
	s_delay_alu instid0(VALU_DEP_1) | instskip(SKIP_1) | instid1(VALU_DEP_2)
	v_and_b32_e32 v44, 0x7c, v45
	v_and_b32_e32 v17, 3, v45
	v_cmp_ne_u32_e32 vcc_lo, 0x7c, v44
                                        ; implicit-def: $vgpr44
	s_and_saveexec_b32 s22, vcc_lo
	s_delay_alu instid0(SALU_CYCLE_1)
	s_xor_b32 s22, exec_lo, s22
	s_cbranch_execz .LBB4_842
; %bb.839:                              ;   in Loop: Header=BB4_380 Depth=3
	v_bfe_u32 v44, v45, 2, 5
	s_mov_b32 s23, exec_lo
	s_delay_alu instid0(VALU_DEP_1)
	v_cmpx_eq_u32_e32 0, v44
	s_cbranch_execz .LBB4_841
; %bb.840:                              ;   in Loop: Header=BB4_380 Depth=3
	v_clz_i32_u32_e32 v17, v17
	s_delay_alu instid0(VALU_DEP_1) | instskip(SKIP_1) | instid1(VALU_DEP_2)
	v_min_u32_e32 v44, 32, v17
	v_mov_b32_e32 v17, v65
	v_subrev_nc_u32_e32 v45, 29, v44
	v_sub_nc_u32_e32 v44, 30, v44
	s_delay_alu instid0(VALU_DEP_2) | instskip(NEXT) | instid1(VALU_DEP_1)
	v_lshlrev_b64_e32 v[16:17], v45, v[16:17]
	v_and_b32_e32 v17, 3, v16
.LBB4_841:                              ;   in Loop: Header=BB4_380 Depth=3
	s_or_b32 exec_lo, exec_lo, s23
	v_lshlrev_b32_e32 v16, 16, v18
	s_delay_alu instid0(VALU_DEP_1) | instskip(NEXT) | instid1(VALU_DEP_1)
	v_and_b32_e32 v16, 0x80000000, v16
	v_lshl_add_u32 v16, v44, 23, v16
	s_delay_alu instid0(VALU_DEP_1) | instskip(NEXT) | instid1(VALU_DEP_1)
	v_lshl_or_b32 v16, v17, 21, v16
                                        ; implicit-def: $vgpr17
	v_add_nc_u32_e32 v44, 0x38000000, v16
.LBB4_842:                              ;   in Loop: Header=BB4_380 Depth=3
	s_and_not1_saveexec_b32 s22, s22
; %bb.843:                              ;   in Loop: Header=BB4_380 Depth=3
	v_cmp_lt_i16_e32 vcc_lo, -1, v18
	v_cndmask_b32_e32 v16, 0xff800000, v21, vcc_lo
	v_cmp_eq_u32_e32 vcc_lo, 0, v17
	s_delay_alu instid0(VALU_DEP_2)
	v_cndmask_b32_e32 v44, 0x7f800001, v16, vcc_lo
; %bb.844:                              ;   in Loop: Header=BB4_380 Depth=3
	s_or_b32 exec_lo, exec_lo, s22
.LBB4_845:                              ;   in Loop: Header=BB4_380 Depth=3
	s_delay_alu instid0(SALU_CYCLE_1)
	s_or_b32 exec_lo, exec_lo, s21
.LBB4_846:                              ;   in Loop: Header=BB4_380 Depth=3
	s_delay_alu instid0(SALU_CYCLE_1) | instskip(SKIP_2) | instid1(VALU_DEP_1)
	s_or_b32 exec_lo, exec_lo, s8
	v_lshrrev_b16 v16, 8, v2
	s_mov_b32 s8, exec_lo
	v_cmpx_ne_u16_e32 0, v16
	s_cbranch_execz .LBB4_856
; %bb.847:                              ;   in Loop: Header=BB4_380 Depth=3
	v_bfrev_b32_e32 v5, 1
	s_mov_b32 s21, exec_lo
	v_cmpx_ne_u16_e32 0x80, v16
	s_cbranch_execz .LBB4_855
; %bb.848:                              ;   in Loop: Header=BB4_380 Depth=3
	v_and_b32_e32 v45, 0xffff, v16
	s_delay_alu instid0(VALU_DEP_1) | instskip(SKIP_1) | instid1(VALU_DEP_2)
	v_and_b32_e32 v5, 0x7c, v45
	v_and_b32_e32 v17, 3, v45
	v_cmp_ne_u32_e32 vcc_lo, 0x7c, v5
                                        ; implicit-def: $vgpr5
	s_and_saveexec_b32 s22, vcc_lo
	s_delay_alu instid0(SALU_CYCLE_1)
	s_xor_b32 s22, exec_lo, s22
	s_cbranch_execz .LBB4_852
; %bb.849:                              ;   in Loop: Header=BB4_380 Depth=3
	v_bfe_u32 v5, v45, 2, 5
	s_mov_b32 s23, exec_lo
	s_delay_alu instid0(VALU_DEP_1)
	v_cmpx_eq_u32_e32 0, v5
	s_cbranch_execz .LBB4_851
; %bb.850:                              ;   in Loop: Header=BB4_380 Depth=3
	v_clz_i32_u32_e32 v5, v17
	s_delay_alu instid0(VALU_DEP_1) | instskip(SKIP_1) | instid1(VALU_DEP_2)
	v_min_u32_e32 v5, 32, v5
	v_mov_b32_e32 v17, v65
	v_subrev_nc_u32_e32 v45, 29, v5
	v_sub_nc_u32_e32 v5, 30, v5
	s_delay_alu instid0(VALU_DEP_2) | instskip(NEXT) | instid1(VALU_DEP_1)
	v_lshlrev_b64_e32 v[16:17], v45, v[16:17]
	v_and_b32_e32 v17, 3, v16
.LBB4_851:                              ;   in Loop: Header=BB4_380 Depth=3
	s_or_b32 exec_lo, exec_lo, s23
	v_lshlrev_b32_e32 v2, 16, v2
	s_delay_alu instid0(VALU_DEP_1) | instskip(NEXT) | instid1(VALU_DEP_1)
	v_and_b32_e32 v2, 0x80000000, v2
	v_lshl_add_u32 v2, v5, 23, v2
	s_delay_alu instid0(VALU_DEP_1) | instskip(NEXT) | instid1(VALU_DEP_1)
	v_lshl_or_b32 v2, v17, 21, v2
                                        ; implicit-def: $vgpr17
	v_add_nc_u32_e32 v5, 0x38000000, v2
                                        ; implicit-def: $vgpr2
.LBB4_852:                              ;   in Loop: Header=BB4_380 Depth=3
	s_and_not1_saveexec_b32 s22, s22
; %bb.853:                              ;   in Loop: Header=BB4_380 Depth=3
	v_cmp_lt_i16_e32 vcc_lo, -1, v2
	v_cndmask_b32_e32 v2, 0xff800000, v21, vcc_lo
	v_cmp_eq_u32_e32 vcc_lo, 0, v17
	s_delay_alu instid0(VALU_DEP_2)
	v_cndmask_b32_e32 v5, 0x7f800001, v2, vcc_lo
; %bb.854:                              ;   in Loop: Header=BB4_380 Depth=3
	s_or_b32 exec_lo, exec_lo, s22
.LBB4_855:                              ;   in Loop: Header=BB4_380 Depth=3
	s_delay_alu instid0(SALU_CYCLE_1)
	s_or_b32 exec_lo, exec_lo, s21
.LBB4_856:                              ;   in Loop: Header=BB4_380 Depth=3
	s_delay_alu instid0(SALU_CYCLE_1) | instskip(NEXT) | instid1(VALU_DEP_1)
	s_or_b32 exec_lo, exec_lo, s8
	v_dual_add_f32 v5, v44, v5 :: v_dual_mov_b32 v45, v65
	v_mov_b32_e32 v17, v65
                                        ; implicit-def: $vgpr74
	s_mov_b32 s8, exec_lo
	s_delay_alu instid0(VALU_DEP_2) | instskip(SKIP_2) | instid1(VALU_DEP_3)
	v_and_b32_e32 v44, 0x7f800000, v5
	v_and_b32_e32 v16, 0x7fffff, v5
	v_lshrrev_b32_e32 v2, 24, v5
	v_cmpx_ne_u64_e32 0x7f800000, v[44:45]
	s_xor_b32 s21, exec_lo, s8
	s_cbranch_execz .LBB4_870
; %bb.857:                              ;   in Loop: Header=BB4_380 Depth=3
	v_and_b32_e32 v44, 0x7fffffff, v5
	v_mov_b32_e32 v45, v65
	v_and_b32_e32 v2, 0x80, v2
                                        ; implicit-def: $vgpr74
	s_mov_b32 s8, exec_lo
	s_delay_alu instid0(VALU_DEP_2)
	v_cmpx_gt_u64_e32 0x47600001, v[44:45]
	s_xor_b32 s22, exec_lo, s8
	s_cbranch_execz .LBB4_867
; %bb.858:                              ;   in Loop: Header=BB4_380 Depth=3
	v_mov_b32_e32 v74, 0
	s_mov_b32 s23, exec_lo
	v_cmpx_ne_u32_e32 0, v5
	s_cbranch_execz .LBB4_866
; %bb.859:                              ;   in Loop: Header=BB4_380 Depth=3
	v_bfe_u32 v5, v5, 23, 8
	v_or_b32_e32 v76, 0x800000, v16
	s_delay_alu instid0(VALU_DEP_2) | instskip(SKIP_1) | instid1(VALU_DEP_2)
	v_sub_nc_u32_e32 v44, 0x71, v5
	v_cmp_gt_u32_e32 vcc_lo, 0x72, v5
	v_cndmask_b32_e32 v44, 0, v44, vcc_lo
	v_cmp_eq_u32_e32 vcc_lo, 0, v5
	s_delay_alu instid0(VALU_DEP_2) | instskip(NEXT) | instid1(VALU_DEP_1)
	v_cndmask_b32_e64 v74, v44, 0x70, vcc_lo
	v_dual_cndmask_b32 v16, v76, v16, vcc_lo :: v_dual_add_nc_u32 v44, 21, v74
	v_add_nc_u32_e32 v77, 20, v74
	s_delay_alu instid0(VALU_DEP_2) | instskip(NEXT) | instid1(VALU_DEP_2)
	v_lshlrev_b64_e64 v[44:45], v44, -1
	v_lshlrev_b64_e64 v[76:77], v77, 1
	s_delay_alu instid0(VALU_DEP_2) | instskip(SKIP_1) | instid1(VALU_DEP_4)
	v_bfi_b32 v44, v44, 0, v16
	v_lshrrev_b64 v[16:17], v74, v[16:17]
	v_bfi_b32 v45, v45, 0, 0
	s_delay_alu instid0(VALU_DEP_1) | instskip(NEXT) | instid1(VALU_DEP_3)
	v_cmp_eq_u64_e64 s8, v[44:45], v[76:77]
	v_mov_b64_e32 v[44:45], v[16:17]
	s_and_saveexec_b32 s24, s8
; %bb.860:                              ;   in Loop: Header=BB4_380 Depth=3
	v_bfe_u32 v44, v16, 21, 1
	v_mov_b32_e32 v45, v65
	s_delay_alu instid0(VALU_DEP_1) | instskip(NEXT) | instid1(VALU_DEP_1)
	v_add_nc_u64_e32 v[44:45], v[16:17], v[44:45]
	v_add_nc_u64_e32 v[44:45], -1, v[44:45]
; %bb.861:                              ;   in Loop: Header=BB4_380 Depth=3
	s_or_b32 exec_lo, exec_lo, s24
	v_add_nc_u32_e32 v5, 0xffffff81, v5
	v_lshrrev_b32_e32 v17, 23, v16
	s_mov_b32 s8, exec_lo
	s_delay_alu instid0(VALU_DEP_2) | instskip(NEXT) | instid1(VALU_DEP_1)
	v_cndmask_b32_e64 v5, v5, 0xffffff82, vcc_lo
	v_add3_u32 v45, v74, v5, v17
	v_and_b32_e32 v5, 0x1fffff, v44
	s_delay_alu instid0(VALU_DEP_2) | instskip(NEXT) | instid1(VALU_DEP_2)
	v_dual_mov_b32 v17, v65 :: v_dual_add_nc_u32 v44, 14, v45
	v_add_nc_u32_e32 v16, v5, v16
                                        ; implicit-def: $vgpr5
	s_delay_alu instid0(VALU_DEP_2)
	v_cmpx_ne_u32_e32 0, v44
	s_xor_b32 s8, exec_lo, s8
; %bb.862:                              ;   in Loop: Header=BB4_380 Depth=3
	s_delay_alu instid0(VALU_DEP_2) | instskip(SKIP_1) | instid1(VALU_DEP_1)
	v_cmp_lt_u64_e32 vcc_lo, 0xffffff, v[16:17]
	v_add_nc_u32_e32 v5, 15, v45
	v_cndmask_b32_e32 v5, v44, v5, vcc_lo
	v_cndmask_b32_e64 v44, 0, 1, vcc_lo
	s_delay_alu instid0(VALU_DEP_1)
	v_lshrrev_b64 v[16:17], v44, v[16:17]
; %bb.863:                              ;   in Loop: Header=BB4_380 Depth=3
	s_and_not1_saveexec_b32 s8, s8
; %bb.864:                              ;   in Loop: Header=BB4_380 Depth=3
	s_delay_alu instid0(VALU_DEP_1)
	v_bfe_u32 v5, v16, 23, 1
; %bb.865:                              ;   in Loop: Header=BB4_380 Depth=3
	s_or_b32 exec_lo, exec_lo, s8
	s_delay_alu instid0(VALU_DEP_2) | instskip(NEXT) | instid1(VALU_DEP_2)
	v_lshrrev_b64 v[16:17], 21, v[16:17]
	v_cmp_gt_i32_e32 vcc_lo, 32, v5
	v_min_i32_e32 v44, 31, v5
	v_cmp_eq_u32_e64 s8, 0, v5
	s_delay_alu instid0(VALU_DEP_4) | instskip(NEXT) | instid1(VALU_DEP_3)
	v_cndmask_b32_e32 v16, 3, v16, vcc_lo
	v_dual_cndmask_b32 v17, 0, v17 :: v_dual_lshlrev_b32 v44, 2, v44
	s_delay_alu instid0(VALU_DEP_1) | instskip(NEXT) | instid1(VALU_DEP_2)
	v_and_b32_e32 v44, 0xfc, v44
	v_cmp_eq_u64_e32 vcc_lo, 0, v[16:17]
	s_delay_alu instid0(VALU_DEP_2)
	v_and_or_b32 v5, v16, 3, v44
	s_and_b32 s8, s8, vcc_lo
	s_delay_alu instid0(VALU_DEP_1) | instid1(SALU_CYCLE_1)
	v_cndmask_b32_e64 v5, v5, 0, s8
	s_delay_alu instid0(VALU_DEP_1)
	v_or_b32_e32 v74, v5, v2
.LBB4_866:                              ;   in Loop: Header=BB4_380 Depth=3
	s_or_b32 exec_lo, exec_lo, s23
                                        ; implicit-def: $vgpr2
.LBB4_867:                              ;   in Loop: Header=BB4_380 Depth=3
	s_and_not1_saveexec_b32 s8, s22
; %bb.868:                              ;   in Loop: Header=BB4_380 Depth=3
	v_or_b32_e32 v74, 0x7b, v2
; %bb.869:                              ;   in Loop: Header=BB4_380 Depth=3
	s_or_b32 exec_lo, exec_lo, s8
                                        ; implicit-def: $vgpr5
                                        ; implicit-def: $vgpr16_vgpr17
                                        ; implicit-def: $vgpr2
.LBB4_870:                              ;   in Loop: Header=BB4_380 Depth=3
	s_and_not1_saveexec_b32 s8, s21
	s_cbranch_execz .LBB4_876
; %bb.871:                              ;   in Loop: Header=BB4_380 Depth=3
	s_mov_b32 s21, exec_lo
                                        ; implicit-def: $vgpr74
	v_cmpx_ne_u64_e32 0, v[16:17]
	s_xor_b32 s21, exec_lo, s21
; %bb.872:                              ;   in Loop: Header=BB4_380 Depth=3
	v_or_b32_e32 v74, 0x7f, v2
                                        ; implicit-def: $vgpr5
; %bb.873:                              ;   in Loop: Header=BB4_380 Depth=3
	s_and_not1_saveexec_b32 s21, s21
; %bb.874:                              ;   in Loop: Header=BB4_380 Depth=3
	v_cmp_lt_i32_e32 vcc_lo, -1, v5
	v_cndmask_b32_e32 v74, 0xfc, v59, vcc_lo
; %bb.875:                              ;   in Loop: Header=BB4_380 Depth=3
	s_or_b32 exec_lo, exec_lo, s21
.LBB4_876:                              ;   in Loop: Header=BB4_380 Depth=3
	s_delay_alu instid0(SALU_CYCLE_1) | instskip(SKIP_3) | instid1(VALU_DEP_2)
	s_or_b32 exec_lo, exec_lo, s8
	v_dual_mov_b32 v5, 0 :: v_dual_lshrrev_b32 v2, 16, v18
	v_mov_b32_e32 v16, 0
	s_mov_b32 s8, exec_lo
	v_and_b32_e32 v17, 0xff, v2
	s_delay_alu instid0(VALU_DEP_1)
	v_cmpx_ne_u16_e32 0, v17
	s_cbranch_execz .LBB4_886
; %bb.877:                              ;   in Loop: Header=BB4_380 Depth=3
	v_bfrev_b32_e32 v16, 1
	s_mov_b32 s21, exec_lo
	v_cmpx_ne_u16_e32 0x80, v17
	s_cbranch_execz .LBB4_885
; %bb.878:                              ;   in Loop: Header=BB4_380 Depth=3
	v_and_b32_e32 v16, 0x7c0000, v18
	v_bfe_u32 v17, v18, 16, 2
	s_delay_alu instid0(VALU_DEP_2) | instskip(SKIP_1) | instid1(SALU_CYCLE_1)
	v_cmp_ne_u32_e32 vcc_lo, 0x7c0000, v16
                                        ; implicit-def: $vgpr16
	s_and_saveexec_b32 s22, vcc_lo
	s_xor_b32 s22, exec_lo, s22
	s_cbranch_execz .LBB4_882
; %bb.879:                              ;   in Loop: Header=BB4_380 Depth=3
	v_bfe_u32 v16, v18, 18, 5
	s_mov_b32 s23, exec_lo
	s_delay_alu instid0(VALU_DEP_1)
	v_cmpx_eq_u32_e32 0, v16
; %bb.880:                              ;   in Loop: Header=BB4_380 Depth=3
	v_clz_i32_u32_e32 v16, v17
	s_delay_alu instid0(VALU_DEP_1) | instskip(NEXT) | instid1(VALU_DEP_1)
	v_min_u32_e32 v16, 32, v16
	v_subrev_nc_u32_e32 v17, 29, v16
	v_sub_nc_u32_e32 v16, 30, v16
	s_delay_alu instid0(VALU_DEP_2) | instskip(NEXT) | instid1(VALU_DEP_1)
	v_lshlrev_b64_e32 v[44:45], v17, v[2:3]
	v_and_b32_e32 v17, 3, v44
; %bb.881:                              ;   in Loop: Header=BB4_380 Depth=3
	s_or_b32 exec_lo, exec_lo, s23
	v_lshlrev_b32_e32 v2, 24, v2
	s_delay_alu instid0(VALU_DEP_1) | instskip(NEXT) | instid1(VALU_DEP_1)
	v_and_b32_e32 v2, 0x80000000, v2
	v_lshl_add_u32 v2, v16, 23, v2
	s_delay_alu instid0(VALU_DEP_1) | instskip(NEXT) | instid1(VALU_DEP_1)
	v_lshl_or_b32 v2, v17, 21, v2
                                        ; implicit-def: $vgpr17
	v_add_nc_u32_e32 v16, 0x38000000, v2
                                        ; implicit-def: $vgpr2
.LBB4_882:                              ;   in Loop: Header=BB4_380 Depth=3
	s_and_not1_saveexec_b32 s22, s22
; %bb.883:                              ;   in Loop: Header=BB4_380 Depth=3
	v_bfe_i32 v2, v2, 0, 8
	s_delay_alu instid0(VALU_DEP_1) | instskip(SKIP_2) | instid1(VALU_DEP_2)
	v_cmp_lt_i16_e32 vcc_lo, -1, v2
	v_cndmask_b32_e32 v2, 0xff800000, v21, vcc_lo
	v_cmp_eq_u32_e32 vcc_lo, 0, v17
	v_cndmask_b32_e32 v16, 0x7f800001, v2, vcc_lo
; %bb.884:                              ;   in Loop: Header=BB4_380 Depth=3
	s_or_b32 exec_lo, exec_lo, s22
.LBB4_885:                              ;   in Loop: Header=BB4_380 Depth=3
	s_delay_alu instid0(SALU_CYCLE_1)
	s_or_b32 exec_lo, exec_lo, s21
.LBB4_886:                              ;   in Loop: Header=BB4_380 Depth=3
	s_delay_alu instid0(SALU_CYCLE_1) | instskip(SKIP_2) | instid1(VALU_DEP_1)
	s_or_b32 exec_lo, exec_lo, s8
	v_lshrrev_b32_e32 v2, 16, v4
	s_mov_b32 s8, exec_lo
	v_and_b32_e32 v17, 0xff, v2
	s_delay_alu instid0(VALU_DEP_1)
	v_cmpx_ne_u16_e32 0, v17
	s_cbranch_execz .LBB4_896
; %bb.887:                              ;   in Loop: Header=BB4_380 Depth=3
	v_bfrev_b32_e32 v5, 1
	s_mov_b32 s21, exec_lo
	v_cmpx_ne_u16_e32 0x80, v17
	s_cbranch_execz .LBB4_895
; %bb.888:                              ;   in Loop: Header=BB4_380 Depth=3
	v_and_b32_e32 v5, 0x7c0000, v4
	v_bfe_u32 v17, v4, 16, 2
	s_delay_alu instid0(VALU_DEP_2) | instskip(SKIP_1) | instid1(SALU_CYCLE_1)
	v_cmp_ne_u32_e32 vcc_lo, 0x7c0000, v5
                                        ; implicit-def: $vgpr5
	s_and_saveexec_b32 s22, vcc_lo
	s_xor_b32 s22, exec_lo, s22
	s_cbranch_execz .LBB4_892
; %bb.889:                              ;   in Loop: Header=BB4_380 Depth=3
	v_bfe_u32 v5, v4, 18, 5
	s_mov_b32 s23, exec_lo
	s_delay_alu instid0(VALU_DEP_1)
	v_cmpx_eq_u32_e32 0, v5
; %bb.890:                              ;   in Loop: Header=BB4_380 Depth=3
	v_clz_i32_u32_e32 v5, v17
	s_delay_alu instid0(VALU_DEP_1) | instskip(NEXT) | instid1(VALU_DEP_1)
	v_min_u32_e32 v5, 32, v5
	v_subrev_nc_u32_e32 v17, 29, v5
	s_delay_alu instid0(VALU_DEP_1) | instskip(NEXT) | instid1(VALU_DEP_1)
	v_lshlrev_b64_e32 v[44:45], v17, v[2:3]
	v_dual_sub_nc_u32 v5, 30, v5 :: v_dual_bitop2_b32 v17, 3, v44 bitop3:0x40
; %bb.891:                              ;   in Loop: Header=BB4_380 Depth=3
	s_or_b32 exec_lo, exec_lo, s23
	v_lshlrev_b32_e32 v2, 24, v2
	s_delay_alu instid0(VALU_DEP_1) | instskip(NEXT) | instid1(VALU_DEP_1)
	v_and_b32_e32 v2, 0x80000000, v2
	v_lshl_add_u32 v2, v5, 23, v2
	s_delay_alu instid0(VALU_DEP_1) | instskip(NEXT) | instid1(VALU_DEP_1)
	v_lshl_or_b32 v2, v17, 21, v2
                                        ; implicit-def: $vgpr17
	v_add_nc_u32_e32 v5, 0x38000000, v2
                                        ; implicit-def: $vgpr2
.LBB4_892:                              ;   in Loop: Header=BB4_380 Depth=3
	s_and_not1_saveexec_b32 s22, s22
; %bb.893:                              ;   in Loop: Header=BB4_380 Depth=3
	v_bfe_i32 v2, v2, 0, 8
	s_delay_alu instid0(VALU_DEP_1) | instskip(SKIP_2) | instid1(VALU_DEP_2)
	v_cmp_lt_i16_e32 vcc_lo, -1, v2
	v_cndmask_b32_e32 v2, 0xff800000, v21, vcc_lo
	v_cmp_eq_u32_e32 vcc_lo, 0, v17
	v_cndmask_b32_e32 v5, 0x7f800001, v2, vcc_lo
; %bb.894:                              ;   in Loop: Header=BB4_380 Depth=3
	s_or_b32 exec_lo, exec_lo, s22
.LBB4_895:                              ;   in Loop: Header=BB4_380 Depth=3
	s_delay_alu instid0(SALU_CYCLE_1)
	s_or_b32 exec_lo, exec_lo, s21
.LBB4_896:                              ;   in Loop: Header=BB4_380 Depth=3
	s_delay_alu instid0(SALU_CYCLE_1) | instskip(NEXT) | instid1(VALU_DEP_1)
	s_or_b32 exec_lo, exec_lo, s8
	v_dual_add_f32 v5, v16, v5 :: v_dual_mov_b32 v45, v65
	s_delay_alu instid0(VALU_DEP_1) | instskip(SKIP_2) | instid1(VALU_DEP_2)
	v_dual_mov_b32 v17, v65 :: v_dual_lshrrev_b32 v2, 24, v5
	v_and_b32_e32 v44, 0x7f800000, v5
	v_and_b32_e32 v16, 0x7fffff, v5
	v_cmp_ne_u64_e32 vcc_lo, 0x7f800000, v[44:45]
                                        ; implicit-def: $vgpr44
	s_and_saveexec_b32 s8, vcc_lo
	s_delay_alu instid0(SALU_CYCLE_1)
	s_xor_b32 s21, exec_lo, s8
	s_cbranch_execz .LBB4_910
; %bb.897:                              ;   in Loop: Header=BB4_380 Depth=3
	v_and_b32_e32 v44, 0x7fffffff, v5
	v_mov_b32_e32 v45, v65
	v_and_b32_e32 v2, 0x80, v2
	s_delay_alu instid0(VALU_DEP_2) | instskip(SKIP_1) | instid1(SALU_CYCLE_1)
	v_cmp_gt_u64_e32 vcc_lo, 0x47600001, v[44:45]
                                        ; implicit-def: $vgpr44
	s_and_saveexec_b32 s8, vcc_lo
	s_xor_b32 s22, exec_lo, s8
	s_cbranch_execz .LBB4_907
; %bb.898:                              ;   in Loop: Header=BB4_380 Depth=3
	v_mov_b32_e32 v44, 0
	s_mov_b32 s23, exec_lo
	v_cmpx_ne_u32_e32 0, v5
	s_cbranch_execz .LBB4_906
; %bb.899:                              ;   in Loop: Header=BB4_380 Depth=3
	v_bfe_u32 v5, v5, 23, 8
	v_or_b32_e32 v77, 0x800000, v16
	s_delay_alu instid0(VALU_DEP_2) | instskip(SKIP_1) | instid1(VALU_DEP_2)
	v_sub_nc_u32_e32 v44, 0x71, v5
	v_cmp_gt_u32_e32 vcc_lo, 0x72, v5
	v_cndmask_b32_e32 v44, 0, v44, vcc_lo
	v_cmp_eq_u32_e32 vcc_lo, 0, v5
	s_delay_alu instid0(VALU_DEP_2) | instskip(SKIP_1) | instid1(VALU_DEP_2)
	v_cndmask_b32_e64 v76, v44, 0x70, vcc_lo
	v_cndmask_b32_e32 v16, v77, v16, vcc_lo
	v_dual_add_nc_u32 v44, 21, v76 :: v_dual_add_nc_u32 v78, 20, v76
	s_delay_alu instid0(VALU_DEP_1) | instskip(NEXT) | instid1(VALU_DEP_2)
	v_lshlrev_b64_e64 v[44:45], v44, -1
	v_lshlrev_b64_e64 v[78:79], v78, 1
	s_delay_alu instid0(VALU_DEP_2) | instskip(SKIP_1) | instid1(VALU_DEP_4)
	v_bfi_b32 v44, v44, 0, v16
	v_lshrrev_b64 v[16:17], v76, v[16:17]
	v_bfi_b32 v45, v45, 0, 0
	s_delay_alu instid0(VALU_DEP_1) | instskip(NEXT) | instid1(VALU_DEP_3)
	v_cmp_eq_u64_e64 s8, v[44:45], v[78:79]
	v_mov_b64_e32 v[44:45], v[16:17]
	s_and_saveexec_b32 s24, s8
; %bb.900:                              ;   in Loop: Header=BB4_380 Depth=3
	v_bfe_u32 v44, v16, 21, 1
	v_mov_b32_e32 v45, v65
	s_delay_alu instid0(VALU_DEP_1) | instskip(NEXT) | instid1(VALU_DEP_1)
	v_add_nc_u64_e32 v[44:45], v[16:17], v[44:45]
	v_add_nc_u64_e32 v[44:45], -1, v[44:45]
; %bb.901:                              ;   in Loop: Header=BB4_380 Depth=3
	s_or_b32 exec_lo, exec_lo, s24
	v_add_nc_u32_e32 v5, 0xffffff81, v5
	v_lshrrev_b32_e32 v17, 23, v16
	s_mov_b32 s8, exec_lo
	s_delay_alu instid0(VALU_DEP_2) | instskip(NEXT) | instid1(VALU_DEP_1)
	v_cndmask_b32_e64 v5, v5, 0xffffff82, vcc_lo
	v_add3_u32 v45, v76, v5, v17
	v_and_b32_e32 v5, 0x1fffff, v44
	s_delay_alu instid0(VALU_DEP_2) | instskip(NEXT) | instid1(VALU_DEP_2)
	v_dual_mov_b32 v17, v65 :: v_dual_add_nc_u32 v44, 14, v45
	v_add_nc_u32_e32 v16, v5, v16
                                        ; implicit-def: $vgpr5
	s_delay_alu instid0(VALU_DEP_2)
	v_cmpx_ne_u32_e32 0, v44
	s_xor_b32 s8, exec_lo, s8
; %bb.902:                              ;   in Loop: Header=BB4_380 Depth=3
	s_delay_alu instid0(VALU_DEP_2) | instskip(SKIP_1) | instid1(VALU_DEP_1)
	v_cmp_lt_u64_e32 vcc_lo, 0xffffff, v[16:17]
	v_add_nc_u32_e32 v5, 15, v45
	v_cndmask_b32_e32 v5, v44, v5, vcc_lo
	v_cndmask_b32_e64 v44, 0, 1, vcc_lo
	s_delay_alu instid0(VALU_DEP_1)
	v_lshrrev_b64 v[16:17], v44, v[16:17]
; %bb.903:                              ;   in Loop: Header=BB4_380 Depth=3
	s_and_not1_saveexec_b32 s8, s8
; %bb.904:                              ;   in Loop: Header=BB4_380 Depth=3
	s_delay_alu instid0(VALU_DEP_1)
	v_bfe_u32 v5, v16, 23, 1
; %bb.905:                              ;   in Loop: Header=BB4_380 Depth=3
	s_or_b32 exec_lo, exec_lo, s8
	s_delay_alu instid0(VALU_DEP_2) | instskip(NEXT) | instid1(VALU_DEP_2)
	v_lshrrev_b64 v[16:17], 21, v[16:17]
	v_cmp_gt_i32_e32 vcc_lo, 32, v5
	v_min_i32_e32 v44, 31, v5
	v_cmp_eq_u32_e64 s8, 0, v5
	s_delay_alu instid0(VALU_DEP_4) | instskip(NEXT) | instid1(VALU_DEP_3)
	v_cndmask_b32_e32 v16, 3, v16, vcc_lo
	v_dual_cndmask_b32 v17, 0, v17 :: v_dual_lshlrev_b32 v44, 2, v44
	s_delay_alu instid0(VALU_DEP_1) | instskip(NEXT) | instid1(VALU_DEP_2)
	v_and_b32_e32 v44, 0xfc, v44
	v_cmp_eq_u64_e32 vcc_lo, 0, v[16:17]
	s_delay_alu instid0(VALU_DEP_2)
	v_and_or_b32 v5, v16, 3, v44
	s_and_b32 s8, s8, vcc_lo
	s_delay_alu instid0(VALU_DEP_1) | instid1(SALU_CYCLE_1)
	v_cndmask_b32_e64 v5, v5, 0, s8
	s_delay_alu instid0(VALU_DEP_1)
	v_or_b32_e32 v44, v5, v2
.LBB4_906:                              ;   in Loop: Header=BB4_380 Depth=3
	s_or_b32 exec_lo, exec_lo, s23
                                        ; implicit-def: $vgpr2
.LBB4_907:                              ;   in Loop: Header=BB4_380 Depth=3
	s_and_not1_saveexec_b32 s8, s22
; %bb.908:                              ;   in Loop: Header=BB4_380 Depth=3
	v_or_b32_e32 v44, 0x7b, v2
; %bb.909:                              ;   in Loop: Header=BB4_380 Depth=3
	s_or_b32 exec_lo, exec_lo, s8
                                        ; implicit-def: $vgpr5
                                        ; implicit-def: $vgpr16_vgpr17
                                        ; implicit-def: $vgpr2
.LBB4_910:                              ;   in Loop: Header=BB4_380 Depth=3
	s_and_not1_saveexec_b32 s8, s21
	s_cbranch_execz .LBB4_916
; %bb.911:                              ;   in Loop: Header=BB4_380 Depth=3
	s_mov_b32 s21, exec_lo
                                        ; implicit-def: $vgpr44
	v_cmpx_ne_u64_e32 0, v[16:17]
	s_xor_b32 s21, exec_lo, s21
; %bb.912:                              ;   in Loop: Header=BB4_380 Depth=3
	v_or_b32_e32 v44, 0x7f, v2
                                        ; implicit-def: $vgpr5
; %bb.913:                              ;   in Loop: Header=BB4_380 Depth=3
	s_and_not1_saveexec_b32 s21, s21
; %bb.914:                              ;   in Loop: Header=BB4_380 Depth=3
	v_cmp_lt_i32_e32 vcc_lo, -1, v5
	v_cndmask_b32_e32 v44, 0xfc, v59, vcc_lo
; %bb.915:                              ;   in Loop: Header=BB4_380 Depth=3
	s_or_b32 exec_lo, exec_lo, s21
.LBB4_916:                              ;   in Loop: Header=BB4_380 Depth=3
	s_delay_alu instid0(SALU_CYCLE_1) | instskip(SKIP_3) | instid1(VALU_DEP_2)
	s_or_b32 exec_lo, exec_lo, s8
	v_dual_mov_b32 v16, v65 :: v_dual_mov_b32 v17, v18
	v_dual_mov_b32 v45, 0 :: v_dual_mov_b32 v76, 0
	s_mov_b32 s8, exec_lo
	v_cmpx_lt_u64_e64 s[12:13], v[16:17]
	s_cbranch_execz .LBB4_926
; %bb.917:                              ;   in Loop: Header=BB4_380 Depth=3
	v_lshrrev_b32_e32 v2, 24, v18
	v_bfrev_b32_e32 v76, 1
	s_mov_b32 s21, exec_lo
	s_delay_alu instid0(VALU_DEP_2)
	v_cmpx_ne_u32_e32 0x80, v2
	s_cbranch_execz .LBB4_925
; %bb.918:                              ;   in Loop: Header=BB4_380 Depth=3
	v_and_b32_e32 v76, 0x7c000000, v18
	v_bfe_u32 v5, v18, 24, 2
	s_delay_alu instid0(VALU_DEP_2) | instskip(SKIP_1) | instid1(SALU_CYCLE_1)
	v_cmp_ne_u32_e32 vcc_lo, 0x7c000000, v76
                                        ; implicit-def: $vgpr76
	s_and_saveexec_b32 s22, vcc_lo
	s_xor_b32 s22, exec_lo, s22
	s_cbranch_execz .LBB4_922
; %bb.919:                              ;   in Loop: Header=BB4_380 Depth=3
	v_bfe_u32 v16, v18, 26, 5
	s_mov_b32 s23, exec_lo
	s_delay_alu instid0(VALU_DEP_1)
	v_cmpx_eq_u32_e32 0, v16
; %bb.920:                              ;   in Loop: Header=BB4_380 Depth=3
	v_clz_i32_u32_e32 v5, v5
	s_delay_alu instid0(VALU_DEP_1) | instskip(NEXT) | instid1(VALU_DEP_1)
	v_min_u32_e32 v5, 32, v5
	v_subrev_nc_u32_e32 v16, 29, v5
	s_delay_alu instid0(VALU_DEP_1) | instskip(NEXT) | instid1(VALU_DEP_1)
	v_lshlrev_b64_e32 v[76:77], v16, v[2:3]
	v_dual_sub_nc_u32 v16, 30, v5 :: v_dual_bitop2_b32 v5, 3, v76 bitop3:0x40
; %bb.921:                              ;   in Loop: Header=BB4_380 Depth=3
	s_or_b32 exec_lo, exec_lo, s23
	v_and_b32_e32 v2, 0x80000000, v18
	s_delay_alu instid0(VALU_DEP_1) | instskip(NEXT) | instid1(VALU_DEP_1)
	v_lshl_add_u32 v2, v16, 23, v2
                                        ; implicit-def: $vgpr16_vgpr17
	v_lshl_or_b32 v2, v5, 21, v2
                                        ; implicit-def: $vgpr5
	s_delay_alu instid0(VALU_DEP_1)
	v_add_nc_u32_e32 v76, 0x38000000, v2
.LBB4_922:                              ;   in Loop: Header=BB4_380 Depth=3
	s_and_not1_saveexec_b32 s22, s22
; %bb.923:                              ;   in Loop: Header=BB4_380 Depth=3
	v_cmp_lt_i64_e32 vcc_lo, -1, v[16:17]
	v_cndmask_b32_e32 v2, 0xff800000, v21, vcc_lo
	v_cmp_eq_u32_e32 vcc_lo, 0, v5
	s_delay_alu instid0(VALU_DEP_2)
	v_cndmask_b32_e32 v76, 0x7f800001, v2, vcc_lo
; %bb.924:                              ;   in Loop: Header=BB4_380 Depth=3
	s_or_b32 exec_lo, exec_lo, s22
.LBB4_925:                              ;   in Loop: Header=BB4_380 Depth=3
	s_delay_alu instid0(SALU_CYCLE_1)
	s_or_b32 exec_lo, exec_lo, s21
.LBB4_926:                              ;   in Loop: Header=BB4_380 Depth=3
	s_delay_alu instid0(SALU_CYCLE_1) | instskip(NEXT) | instid1(SALU_CYCLE_1)
	s_or_b32 exec_lo, exec_lo, s8
	s_mov_b32 s8, exec_lo
	v_cmpx_lt_u32_e32 0xffffff, v4
	s_cbranch_execz .LBB4_936
; %bb.927:                              ;   in Loop: Header=BB4_380 Depth=3
	v_lshrrev_b32_e32 v2, 24, v4
	v_bfrev_b32_e32 v45, 1
	s_mov_b32 s21, exec_lo
	s_delay_alu instid0(VALU_DEP_2)
	v_cmpx_ne_u32_e32 0x80, v2
	s_cbranch_execz .LBB4_935
; %bb.928:                              ;   in Loop: Header=BB4_380 Depth=3
	v_and_b32_e32 v5, 0x7c000000, v4
	v_bfe_u32 v16, v4, 24, 2
	s_mov_b32 s22, exec_lo
                                        ; implicit-def: $vgpr45
	s_delay_alu instid0(VALU_DEP_2)
	v_cmpx_ne_u32_e32 0x7c000000, v5
	s_xor_b32 s22, exec_lo, s22
	s_cbranch_execz .LBB4_932
; %bb.929:                              ;   in Loop: Header=BB4_380 Depth=3
	v_bfe_u32 v5, v4, 26, 5
	s_mov_b32 s23, exec_lo
	s_delay_alu instid0(VALU_DEP_1)
	v_cmpx_eq_u32_e32 0, v5
; %bb.930:                              ;   in Loop: Header=BB4_380 Depth=3
	v_clz_i32_u32_e32 v5, v16
	s_delay_alu instid0(VALU_DEP_1) | instskip(NEXT) | instid1(VALU_DEP_1)
	v_min_u32_e32 v5, 32, v5
	v_subrev_nc_u32_e32 v16, 29, v5
	s_delay_alu instid0(VALU_DEP_1) | instskip(NEXT) | instid1(VALU_DEP_1)
	v_lshlrev_b64_e32 v[16:17], v16, v[2:3]
	v_dual_sub_nc_u32 v5, 30, v5 :: v_dual_bitop2_b32 v16, 3, v16 bitop3:0x40
; %bb.931:                              ;   in Loop: Header=BB4_380 Depth=3
	s_or_b32 exec_lo, exec_lo, s23
	v_and_b32_e32 v2, 0x80000000, v4
	s_delay_alu instid0(VALU_DEP_1) | instskip(NEXT) | instid1(VALU_DEP_1)
	v_lshl_add_u32 v2, v5, 23, v2
                                        ; implicit-def: $vgpr4_vgpr5
	v_lshl_or_b32 v2, v16, 21, v2
                                        ; implicit-def: $vgpr16
	s_delay_alu instid0(VALU_DEP_1)
	v_add_nc_u32_e32 v45, 0x38000000, v2
.LBB4_932:                              ;   in Loop: Header=BB4_380 Depth=3
	s_and_not1_saveexec_b32 s22, s22
; %bb.933:                              ;   in Loop: Header=BB4_380 Depth=3
	v_cmp_lt_i32_e32 vcc_lo, -1, v4
	v_cndmask_b32_e32 v2, 0xff800000, v21, vcc_lo
	v_cmp_eq_u32_e32 vcc_lo, 0, v16
	s_delay_alu instid0(VALU_DEP_2)
	v_cndmask_b32_e32 v45, 0x7f800001, v2, vcc_lo
; %bb.934:                              ;   in Loop: Header=BB4_380 Depth=3
	s_or_b32 exec_lo, exec_lo, s22
.LBB4_935:                              ;   in Loop: Header=BB4_380 Depth=3
	s_delay_alu instid0(SALU_CYCLE_1)
	s_or_b32 exec_lo, exec_lo, s21
.LBB4_936:                              ;   in Loop: Header=BB4_380 Depth=3
	s_delay_alu instid0(SALU_CYCLE_1) | instskip(NEXT) | instid1(VALU_DEP_1)
	s_or_b32 exec_lo, exec_lo, s8
	v_dual_add_f32 v17, v76, v45 :: v_dual_mov_b32 v77, v65
	v_mov_b32_e32 v5, v65
                                        ; implicit-def: $vgpr16
	s_mov_b32 s8, exec_lo
	s_delay_alu instid0(VALU_DEP_2) | instskip(SKIP_2) | instid1(VALU_DEP_3)
	v_and_b32_e32 v76, 0x7f800000, v17
	v_and_b32_e32 v4, 0x7fffff, v17
	v_lshrrev_b32_e32 v2, 24, v17
	v_cmpx_ne_u64_e32 0x7f800000, v[76:77]
	s_xor_b32 s21, exec_lo, s8
	s_cbranch_execz .LBB4_950
; %bb.937:                              ;   in Loop: Header=BB4_380 Depth=3
	v_and_b32_e32 v76, 0x7fffffff, v17
	v_mov_b32_e32 v77, v65
	v_and_b32_e32 v2, 0x80, v2
                                        ; implicit-def: $vgpr16
	s_mov_b32 s8, exec_lo
	s_delay_alu instid0(VALU_DEP_2)
	v_cmpx_gt_u64_e32 0x47600001, v[76:77]
	s_xor_b32 s22, exec_lo, s8
	s_cbranch_execz .LBB4_947
; %bb.938:                              ;   in Loop: Header=BB4_380 Depth=3
	v_mov_b32_e32 v16, 0
	s_mov_b32 s23, exec_lo
	v_cmpx_ne_u32_e32 0, v17
	s_cbranch_execz .LBB4_946
; %bb.939:                              ;   in Loop: Header=BB4_380 Depth=3
	v_bfe_u32 v18, v17, 23, 8
	v_or_b32_e32 v76, 0x800000, v4
	s_delay_alu instid0(VALU_DEP_2) | instskip(SKIP_1) | instid1(VALU_DEP_2)
	v_sub_nc_u32_e32 v16, 0x71, v18
	v_cmp_gt_u32_e32 vcc_lo, 0x72, v18
	v_cndmask_b32_e32 v16, 0, v16, vcc_lo
	v_cmp_eq_u32_e32 vcc_lo, 0, v18
	s_delay_alu instid0(VALU_DEP_2) | instskip(NEXT) | instid1(VALU_DEP_1)
	v_cndmask_b32_e64 v45, v16, 0x70, vcc_lo
	v_dual_cndmask_b32 v4, v76, v4, vcc_lo :: v_dual_add_nc_u32 v16, 21, v45
	v_add_nc_u32_e32 v77, 20, v45
	s_delay_alu instid0(VALU_DEP_2) | instskip(NEXT) | instid1(VALU_DEP_2)
	v_lshlrev_b64_e64 v[16:17], v16, -1
	v_lshlrev_b64_e64 v[76:77], v77, 1
	s_delay_alu instid0(VALU_DEP_2) | instskip(SKIP_1) | instid1(VALU_DEP_4)
	v_bfi_b32 v16, v16, 0, v4
	v_lshrrev_b64 v[4:5], v45, v[4:5]
	v_bfi_b32 v17, v17, 0, 0
	s_delay_alu instid0(VALU_DEP_1) | instskip(NEXT) | instid1(VALU_DEP_3)
	v_cmp_eq_u64_e64 s8, v[16:17], v[76:77]
	v_mov_b64_e32 v[16:17], v[4:5]
	s_and_saveexec_b32 s24, s8
; %bb.940:                              ;   in Loop: Header=BB4_380 Depth=3
	v_bfe_u32 v16, v4, 21, 1
	v_mov_b32_e32 v17, v65
	s_delay_alu instid0(VALU_DEP_1) | instskip(NEXT) | instid1(VALU_DEP_1)
	v_add_nc_u64_e32 v[16:17], v[4:5], v[16:17]
	v_add_nc_u64_e32 v[16:17], -1, v[16:17]
; %bb.941:                              ;   in Loop: Header=BB4_380 Depth=3
	s_or_b32 exec_lo, exec_lo, s24
	v_add_nc_u32_e32 v5, 0xffffff81, v18
	v_lshrrev_b32_e32 v17, 23, v4
	s_mov_b32 s8, exec_lo
	s_delay_alu instid0(VALU_DEP_2) | instskip(NEXT) | instid1(VALU_DEP_1)
	v_cndmask_b32_e64 v5, v5, 0xffffff82, vcc_lo
	v_add3_u32 v17, v45, v5, v17
	v_and_b32_e32 v5, 0x1fffff, v16
                                        ; implicit-def: $vgpr16
	s_delay_alu instid0(VALU_DEP_1) | instskip(SKIP_1) | instid1(VALU_DEP_2)
	v_dual_add_nc_u32 v18, 14, v17 :: v_dual_add_nc_u32 v4, v5, v4
	v_mov_b32_e32 v5, v65
	v_cmpx_ne_u32_e32 0, v18
	s_xor_b32 s8, exec_lo, s8
; %bb.942:                              ;   in Loop: Header=BB4_380 Depth=3
	s_delay_alu instid0(VALU_DEP_2) | instskip(SKIP_2) | instid1(VALU_DEP_2)
	v_cmp_lt_u64_e32 vcc_lo, 0xffffff, v[4:5]
	v_add_nc_u32_e32 v16, 15, v17
	v_cndmask_b32_e64 v17, 0, 1, vcc_lo
	v_cndmask_b32_e32 v16, v18, v16, vcc_lo
	s_delay_alu instid0(VALU_DEP_2)
	v_lshrrev_b64 v[4:5], v17, v[4:5]
; %bb.943:                              ;   in Loop: Header=BB4_380 Depth=3
	s_and_not1_saveexec_b32 s8, s8
; %bb.944:                              ;   in Loop: Header=BB4_380 Depth=3
	s_delay_alu instid0(VALU_DEP_1)
	v_bfe_u32 v16, v4, 23, 1
; %bb.945:                              ;   in Loop: Header=BB4_380 Depth=3
	s_or_b32 exec_lo, exec_lo, s8
	s_delay_alu instid0(VALU_DEP_2) | instskip(NEXT) | instid1(VALU_DEP_2)
	v_lshrrev_b64 v[4:5], 21, v[4:5]
	v_cmp_gt_i32_e32 vcc_lo, 32, v16
	v_min_i32_e32 v17, 31, v16
	v_cmp_eq_u32_e64 s8, 0, v16
	s_delay_alu instid0(VALU_DEP_4) | instskip(NEXT) | instid1(VALU_DEP_3)
	v_cndmask_b32_e32 v5, 0, v5, vcc_lo
	v_dual_cndmask_b32 v4, 3, v4 :: v_dual_lshlrev_b32 v17, 2, v17
	s_delay_alu instid0(VALU_DEP_1) | instskip(NEXT) | instid1(VALU_DEP_2)
	v_and_b32_e32 v17, 0xfc, v17
	v_cmp_eq_u64_e32 vcc_lo, 0, v[4:5]
	s_delay_alu instid0(VALU_DEP_2)
	v_and_or_b32 v4, v4, 3, v17
	s_and_b32 s8, s8, vcc_lo
	s_delay_alu instid0(VALU_DEP_1) | instid1(SALU_CYCLE_1)
	v_cndmask_b32_e64 v4, v4, 0, s8
	s_delay_alu instid0(VALU_DEP_1)
	v_or_b32_e32 v16, v4, v2
.LBB4_946:                              ;   in Loop: Header=BB4_380 Depth=3
	s_or_b32 exec_lo, exec_lo, s23
                                        ; implicit-def: $vgpr2
.LBB4_947:                              ;   in Loop: Header=BB4_380 Depth=3
	s_and_not1_saveexec_b32 s8, s22
; %bb.948:                              ;   in Loop: Header=BB4_380 Depth=3
	v_or_b32_e32 v16, 0x7b, v2
; %bb.949:                              ;   in Loop: Header=BB4_380 Depth=3
	s_or_b32 exec_lo, exec_lo, s8
                                        ; implicit-def: $vgpr17
                                        ; implicit-def: $vgpr4_vgpr5
                                        ; implicit-def: $vgpr2
.LBB4_950:                              ;   in Loop: Header=BB4_380 Depth=3
	s_and_not1_saveexec_b32 s8, s21
	s_cbranch_execz .LBB4_379
; %bb.951:                              ;   in Loop: Header=BB4_380 Depth=3
	s_mov_b32 s21, exec_lo
                                        ; implicit-def: $vgpr16
	v_cmpx_ne_u64_e32 0, v[4:5]
	s_xor_b32 s21, exec_lo, s21
; %bb.952:                              ;   in Loop: Header=BB4_380 Depth=3
	v_or_b32_e32 v16, 0x7f, v2
                                        ; implicit-def: $vgpr17
; %bb.953:                              ;   in Loop: Header=BB4_380 Depth=3
	s_and_not1_saveexec_b32 s21, s21
	s_cbranch_execz .LBB4_378
; %bb.954:                              ;   in Loop: Header=BB4_380 Depth=3
	v_cmp_lt_i32_e32 vcc_lo, -1, v17
	v_cndmask_b32_e32 v16, 0xfc, v59, vcc_lo
	s_branch .LBB4_378
.LBB4_955:                              ;   in Loop: Header=BB4_335 Depth=2
	s_or_b32 exec_lo, exec_lo, s20
	s_delay_alu instid0(SALU_CYCLE_1)
	s_or_b32 exec_lo, exec_lo, s19
	s_and_saveexec_b32 s8, s3
	s_cbranch_execz .LBB4_372
.LBB4_956:                              ;   in Loop: Header=BB4_335 Depth=2
	s_and_saveexec_b32 s19, s4
	s_delay_alu instid0(SALU_CYCLE_1)
	s_xor_b32 s19, exec_lo, s19
	s_cbranch_execz .LBB4_971
; %bb.957:                              ;   in Loop: Header=BB4_335 Depth=2
	s_and_saveexec_b32 s20, s5
	s_cbranch_execz .LBB4_970
; %bb.958:                              ;   in Loop: Header=BB4_335 Depth=2
	s_mov_b32 s22, exec_lo
	s_mov_b32 s21, exec_lo
	v_mbcnt_lo_u32_b32 v2, s22, 0
	global_wb scope:SCOPE_DEV
	s_wait_storecnt 0x0
	s_wait_loadcnt_dscnt 0x0
	global_inv scope:SCOPE_DEV
	v_cmpx_eq_u32_e32 0, v2
	s_cbranch_execz .LBB4_960
; %bb.959:                              ;   in Loop: Header=BB4_335 Depth=2
	s_bcnt1_i32_b32 s22, s22
	s_delay_alu instid0(SALU_CYCLE_1)
	v_dual_mov_b32 v5, v65 :: v_dual_mov_b32 v4, s22
	s_wait_loadcnt 0x0
	ds_add_u64 v0, v[4:5]
	s_trap 2
.LBB4_960:                              ;   in Loop: Header=BB4_335 Depth=2
	s_or_b32 exec_lo, exec_lo, s21
	s_trap 2
	ds_load_b64 v[4:5], v0
	s_wait_dscnt 0x0
	v_add_nc_u64_e32 v[52:53], v[52:53], v[82:83]
	s_mov_b32 s21, exec_lo
	s_delay_alu instid0(VALU_DEP_1)
	v_cmpx_lt_u64_e64 v[4:5], v[52:53]
	s_cbranch_execz .LBB4_969
; %bb.961:                              ;   in Loop: Header=BB4_335 Depth=2
	s_mov_b32 s22, 0
	s_mov_b32 s25, 0
                                        ; implicit-def: $sgpr23
                                        ; implicit-def: $sgpr24
	s_branch .LBB4_963
.LBB4_962:                              ;   in Loop: Header=BB4_963 Depth=3
	s_or_b32 exec_lo, exec_lo, s27
	s_delay_alu instid0(SALU_CYCLE_1) | instskip(NEXT) | instid1(SALU_CYCLE_1)
	s_and_b32 s26, exec_lo, s28
	s_or_b32 s22, s26, s22
	s_and_not1_b32 s23, s23, exec_lo
	s_and_b32 s26, s24, exec_lo
	s_delay_alu instid0(SALU_CYCLE_1)
	s_or_b32 s23, s23, s26
	s_and_not1_b32 exec_lo, exec_lo, s22
	s_cbranch_execz .LBB4_967
.LBB4_963:                              ;   Parent Loop BB4_46 Depth=1
                                        ;     Parent Loop BB4_335 Depth=2
                                        ; =>    This Inner Loop Header: Depth=3
	s_add_co_i32 s25, s25, 1
	s_delay_alu instid0(SALU_CYCLE_1) | instskip(SKIP_1) | instid1(SALU_CYCLE_1)
	s_cmp_lg_u32 s25, 0x2710
	s_cselect_b32 s26, -1, 0
	s_and_b32 vcc_lo, exec_lo, s26
	s_cbranch_vccz .LBB4_965
; %bb.964:                              ;   in Loop: Header=BB4_963 Depth=3
	s_mov_b32 s28, -1
	s_or_b32 s24, s24, exec_lo
	s_and_saveexec_b32 s27, s26
	s_cbranch_execz .LBB4_962
	s_branch .LBB4_966
.LBB4_965:                              ;   in Loop: Header=BB4_963 Depth=3
	s_trap 2
	ds_load_b64 v[4:5], v0
	s_and_not1_b32 s26, s26, exec_lo
	s_mov_b32 s25, 0
	s_wait_loadcnt_dscnt 0x0
	flat_load_b32 v2, v[4:5] scope:SCOPE_SYS
	s_wait_loadcnt_dscnt 0x0
	global_inv scope:SCOPE_SYS
	v_cmp_eq_u32_e32 vcc_lo, 0, v2
	s_and_b32 s27, vcc_lo, exec_lo
	s_delay_alu instid0(SALU_CYCLE_1)
	s_or_b32 s26, s26, s27
	s_mov_b32 s28, -1
	s_or_b32 s24, s24, exec_lo
	s_and_saveexec_b32 s27, s26
	s_cbranch_execz .LBB4_962
.LBB4_966:                              ;   in Loop: Header=BB4_963 Depth=3
	s_sleep 1
	s_trap 2
	ds_load_b64 v[4:5], v0
	s_wait_dscnt 0x0
	s_and_not1_b32 s24, s24, exec_lo
	v_cmp_ge_u64_e32 vcc_lo, v[4:5], v[52:53]
	s_or_not1_b32 s28, vcc_lo, exec_lo
	s_branch .LBB4_962
.LBB4_967:                              ;   in Loop: Header=BB4_335 Depth=2
	s_or_b32 exec_lo, exec_lo, s22
	s_and_saveexec_b32 s22, s23
	s_delay_alu instid0(SALU_CYCLE_1)
	s_xor_b32 s22, exec_lo, s22
	s_cbranch_execz .LBB4_969
; %bb.968:                              ;   in Loop: Header=BB4_335 Depth=2
	ds_store_b32 v0, v1
	s_trap 2
.LBB4_969:                              ;   in Loop: Header=BB4_335 Depth=2
	s_or_b32 exec_lo, exec_lo, s21
	;;#ASMSTART
	s_wakeup
	;;#ASMEND
.LBB4_970:                              ;   in Loop: Header=BB4_335 Depth=2
	s_or_b32 exec_lo, exec_lo, s20
.LBB4_971:                              ;   in Loop: Header=BB4_335 Depth=2
	s_and_not1_saveexec_b32 s19, s19
	s_cbranch_execz .LBB4_973
; %bb.972:                              ;   in Loop: Header=BB4_335 Depth=2
	global_wb scope:SCOPE_DEV
	s_wait_storecnt 0x0
	s_wait_loadcnt_dscnt 0x0
	global_inv scope:SCOPE_DEV
	s_barrier_signal -1
	s_barrier_wait -1
.LBB4_973:                              ;   in Loop: Header=BB4_335 Depth=2
	s_or_b32 exec_lo, exec_lo, s19
	s_delay_alu instid0(SALU_CYCLE_1)
	s_or_b32 exec_lo, exec_lo, s8
	s_and_saveexec_b32 s8, s6
	s_cbranch_execnz .LBB4_373
	s_branch .LBB4_374
.LBB4_974:                              ;   in Loop: Header=BB4_46 Depth=1
	s_delay_alu instid0(VALU_DEP_1)
	v_mov_b64_e32 v[16:17], v[114:115]
	s_and_saveexec_b32 s8, s7
	s_cbranch_execnz .LBB4_977
; %bb.975:                              ;   in Loop: Header=BB4_46 Depth=1
	s_or_b32 exec_lo, exec_lo, s8
	s_and_saveexec_b32 s7, s3
	s_cbranch_execnz .LBB4_1574
.LBB4_976:                              ;   in Loop: Header=BB4_46 Depth=1
	s_or_b32 exec_lo, exec_lo, s7
	s_and_saveexec_b32 s7, s6
	s_cbranch_execz .LBB4_45
	s_branch .LBB4_1592
.LBB4_977:                              ;   in Loop: Header=BB4_46 Depth=1
	flat_load_b32 v4, v[22:23]
	v_add_nc_u64_e32 v[2:3], v[10:11], v[112:113]
	v_dual_mov_b32 v116, v0 :: v_dual_bitop2_b32 v5, 7, v34 bitop3:0x40
	s_mov_b32 s18, 0
	v_add_nc_u32_e32 v42, 1, v34
	s_wait_loadcnt_dscnt 0x0
	s_delay_alu instid0(VALU_DEP_3) | instskip(SKIP_1) | instid1(VALU_DEP_2)
	v_mad_nc_u64_u32 v[2:3], v68, v4, v[2:3]
	v_ashrrev_i32_e32 v18, 31, v4
	v_mad_u32 v3, v69, v4, v3
	v_mul_lo_u32 v4, v5, s15
	s_delay_alu instid0(VALU_DEP_2) | instskip(NEXT) | instid1(VALU_DEP_2)
	v_mad_u32 v3, v68, v18, v3
	v_ashrrev_i32_e32 v5, 31, v4
	v_add_nc_u64_e32 v[18:19], v[8:9], v[112:113]
	s_delay_alu instid0(VALU_DEP_2) | instskip(NEXT) | instid1(VALU_DEP_4)
	v_lshl_add_u64 v[114:115], v[4:5], 4, v[32:33]
	v_add_nc_u64_e32 v[112:113], v[2:3], v[84:85]
	s_branch .LBB4_979
.LBB4_978:                              ;   in Loop: Header=BB4_979 Depth=2
	v_dual_sub_nc_u32 v61, v61, v86 :: v_dual_add_nc_u32 v116, v116, v20
	v_add_nc_u64_e32 v[112:113], v[112:113], v[86:87]
	s_wait_xcnt 0x0
	v_add_nc_u64_e32 v[18:19], v[18:19], v[86:87]
	s_delay_alu instid0(VALU_DEP_3) | instskip(SKIP_1) | instid1(SALU_CYCLE_1)
	v_cmp_gt_i32_e32 vcc_lo, 1, v61
	s_or_b32 s18, vcc_lo, s18
	s_and_not1_b32 exec_lo, exec_lo, s18
	s_cbranch_execz .LBB4_1573
.LBB4_979:                              ;   Parent Loop BB4_46 Depth=1
                                        ; =>  This Loop Header: Depth=2
                                        ;       Child Loop BB4_987 Depth 3
	s_delay_alu instid0(VALU_DEP_1)
	v_dual_mov_b32 v3, v113 :: v_dual_bitop2_b32 v2, -4, v112 bitop3:0x40
	v_min_u32_e32 v4, 8, v61
	v_dual_mov_b32 v43, 0 :: v_dual_bitop2_b32 v5, 3, v112 bitop3:0x40
	v_mov_b32_e32 v45, 0
	global_load_b32 v30, v[2:3], off th:TH_LOAD_NT
	s_mov_b32 s7, exec_lo
	v_add_nc_u32_e32 v64, v5, v4
	s_wait_xcnt 0x0
	s_delay_alu instid0(VALU_DEP_1)
	v_cmpx_lt_u32_e32 4, v64
	s_cbranch_execz .LBB4_981
; %bb.980:                              ;   in Loop: Header=BB4_979 Depth=2
	global_load_b32 v45, v[2:3], off offset:4 th:TH_LOAD_NT
.LBB4_981:                              ;   in Loop: Header=BB4_979 Depth=2
	s_wait_xcnt 0x0
	s_or_b32 exec_lo, exec_lo, s7
	s_delay_alu instid0(SALU_CYCLE_1)
	s_mov_b32 s7, exec_lo
	v_cmpx_lt_u64_e32 8, v[64:65]
	s_cbranch_execz .LBB4_983
; %bb.982:                              ;   in Loop: Header=BB4_979 Depth=2
	global_load_b32 v43, v[2:3], off offset:8 th:TH_LOAD_NT
.LBB4_983:                              ;   in Loop: Header=BB4_979 Depth=2
	s_wait_xcnt 0x0
	s_or_b32 exec_lo, exec_lo, s7
	v_mov_b32_e32 v117, v65
	v_cmp_eq_u32_e32 vcc_lo, 0, v60
	v_mov_b32_e32 v60, 1
	s_delay_alu instid0(VALU_DEP_3)
	v_lshl_add_u64 v[118:119], v[116:117], 4, v[114:115]
	global_load_b128 v[2:5], v[118:119], off th:TH_LOAD_NT
	s_wait_xcnt 0x0
	s_and_saveexec_b32 s19, vcc_lo
	s_cbranch_execz .LBB4_995
; %bb.984:                              ;   in Loop: Header=BB4_979 Depth=2
	s_wait_loadcnt 0x0
	v_cmp_ne_u32_e32 vcc_lo, v42, v3
	v_cmp_ne_u32_e64 s7, v42, v5
	v_mov_b32_e32 v60, 0
	s_or_b32 s7, vcc_lo, s7
	s_delay_alu instid0(SALU_CYCLE_1)
	s_and_saveexec_b32 s20, s7
	s_cbranch_execz .LBB4_994
; %bb.985:                              ;   in Loop: Header=BB4_979 Depth=2
	s_mov_b32 s24, 1
	s_mov_b32 s22, 0
                                        ; implicit-def: $sgpr21
                                        ; implicit-def: $sgpr23
	s_branch .LBB4_987
.LBB4_986:                              ;   in Loop: Header=BB4_987 Depth=3
	s_or_b32 exec_lo, exec_lo, s26
	s_delay_alu instid0(SALU_CYCLE_1) | instskip(NEXT) | instid1(SALU_CYCLE_1)
	s_and_b32 s7, exec_lo, s7
	s_or_b32 s22, s7, s22
	s_and_not1_b32 s7, s21, exec_lo
	s_and_b32 s21, s23, exec_lo
	s_delay_alu instid0(SALU_CYCLE_1)
	s_or_b32 s21, s7, s21
	s_and_not1_b32 exec_lo, exec_lo, s22
	s_cbranch_execz .LBB4_991
.LBB4_987:                              ;   Parent Loop BB4_46 Depth=1
                                        ;     Parent Loop BB4_979 Depth=2
                                        ; =>    This Inner Loop Header: Depth=3
	s_wait_loadcnt 0x0
	global_load_b128 v[2:5], v[118:119], off th:TH_LOAD_NT
	s_add_co_i32 s24, s24, 1
	s_mov_b32 s7, -1
	s_cmp_lg_u32 s24, 0x2710
	s_mov_b32 s25, -1
                                        ; implicit-def: $vgpr64
	s_cbranch_scc0 .LBB4_989
; %bb.988:                              ;   in Loop: Header=BB4_987 Depth=3
	s_or_b32 s23, s23, exec_lo
	s_wait_xcnt 0x0
	s_and_saveexec_b32 s26, s25
	s_cbranch_execz .LBB4_986
	s_branch .LBB4_990
.LBB4_989:                              ;   in Loop: Header=BB4_987 Depth=3
	s_trap 2
	ds_load_b64 v[40:41], v0
	s_mov_b32 s24, 0
	s_wait_storecnt 0x0
	s_wait_loadcnt_dscnt 0x0
	flat_load_b32 v64, v[40:41] scope:SCOPE_SYS
	s_wait_loadcnt_dscnt 0x0
	global_inv scope:SCOPE_SYS
	v_cmp_eq_u32_e32 vcc_lo, 0, v64
	s_or_not1_b32 s25, vcc_lo, exec_lo
	s_or_b32 s23, s23, exec_lo
	s_wait_xcnt 0x0
	s_and_saveexec_b32 s26, s25
	s_cbranch_execz .LBB4_986
.LBB4_990:                              ;   in Loop: Header=BB4_987 Depth=3
	s_wait_loadcnt 0x0
	v_cmp_eq_u32_e32 vcc_lo, v42, v3
	v_cmp_eq_u32_e64 s7, v42, v5
	s_and_not1_b32 s23, s23, exec_lo
	s_and_b32 s7, vcc_lo, s7
	s_delay_alu instid0(SALU_CYCLE_1)
	s_or_not1_b32 s7, s7, exec_lo
	s_branch .LBB4_986
.LBB4_991:                              ;   in Loop: Header=BB4_979 Depth=2
	s_or_b32 exec_lo, exec_lo, s22
	v_mov_b32_e32 v60, 0
	s_and_saveexec_b32 s7, s21
	s_delay_alu instid0(SALU_CYCLE_1)
	s_xor_b32 s7, exec_lo, s7
	s_cbranch_execz .LBB4_993
; %bb.992:                              ;   in Loop: Header=BB4_979 Depth=2
	v_mov_b32_e32 v60, 1
	s_wait_loadcnt 0x0
	s_wait_storecnt 0x0
	ds_store_b32 v0, v64
	s_trap 2
.LBB4_993:                              ;   in Loop: Header=BB4_979 Depth=2
	s_or_b32 exec_lo, exec_lo, s7
.LBB4_994:                              ;   in Loop: Header=BB4_979 Depth=2
	s_delay_alu instid0(SALU_CYCLE_1)
	s_or_b32 exec_lo, exec_lo, s20
.LBB4_995:                              ;   in Loop: Header=BB4_979 Depth=2
	s_delay_alu instid0(SALU_CYCLE_1) | instskip(SKIP_2) | instid1(VALU_DEP_1)
	s_or_b32 exec_lo, exec_lo, s19
	v_lshlrev_b32_e32 v46, 3, v112
	s_wait_loadcnt 0x1
	v_alignbit_b32 v64, v45, v30, v46
	s_delay_alu instid0(VALU_DEP_1) | instskip(NEXT) | instid1(VALU_DEP_1)
	v_and_b32_e32 v30, 0xff, v64
	v_cmp_ne_u16_e32 vcc_lo, 0, v30
	v_mov_b32_e32 v30, 0
	s_and_saveexec_b32 s7, vcc_lo
	s_cbranch_execz .LBB4_1005
; %bb.996:                              ;   in Loop: Header=BB4_979 Depth=2
	v_bfe_i32 v118, v64, 0, 8
	v_bfrev_b32_e32 v30, 1
	s_mov_b32 s19, exec_lo
	s_delay_alu instid0(VALU_DEP_2)
	v_cmpx_ne_u16_e32 0xff80, v118
	s_cbranch_execz .LBB4_1004
; %bb.997:                              ;   in Loop: Header=BB4_979 Depth=2
	v_and_b32_e32 v30, 0x7c, v64
	v_and_b32_e32 v117, 3, v64
	s_delay_alu instid0(VALU_DEP_2) | instskip(SKIP_1) | instid1(SALU_CYCLE_1)
	v_cmp_ne_u32_e32 vcc_lo, 0x7c, v30
                                        ; implicit-def: $vgpr30
	s_and_saveexec_b32 s20, vcc_lo
	s_xor_b32 s20, exec_lo, s20
	s_cbranch_execz .LBB4_1001
; %bb.998:                              ;   in Loop: Header=BB4_979 Depth=2
	v_bfe_u32 v30, v64, 2, 5
	s_mov_b32 s21, exec_lo
	s_delay_alu instid0(VALU_DEP_1)
	v_cmpx_eq_u32_e32 0, v30
; %bb.999:                              ;   in Loop: Header=BB4_979 Depth=2
	v_clz_i32_u32_e32 v30, v117
	s_delay_alu instid0(VALU_DEP_1) | instskip(NEXT) | instid1(VALU_DEP_1)
	v_min_u32_e32 v30, 32, v30
	v_subrev_nc_u32_e32 v117, 29, v30
	v_sub_nc_u32_e32 v30, 30, v30
	s_delay_alu instid0(VALU_DEP_2) | instskip(NEXT) | instid1(VALU_DEP_1)
	v_lshlrev_b64_e32 v[118:119], v117, v[64:65]
	v_and_b32_e32 v117, 3, v118
; %bb.1000:                             ;   in Loop: Header=BB4_979 Depth=2
	s_or_b32 exec_lo, exec_lo, s21
	v_lshlrev_b32_e32 v118, 24, v64
	s_delay_alu instid0(VALU_DEP_1) | instskip(NEXT) | instid1(VALU_DEP_1)
	v_and_b32_e32 v118, 0x80000000, v118
	v_lshl_add_u32 v30, v30, 23, v118
                                        ; implicit-def: $vgpr118
	s_delay_alu instid0(VALU_DEP_1) | instskip(NEXT) | instid1(VALU_DEP_1)
	v_lshl_or_b32 v30, v117, 21, v30
                                        ; implicit-def: $vgpr117
	v_add_nc_u32_e32 v30, 0x38000000, v30
.LBB4_1001:                             ;   in Loop: Header=BB4_979 Depth=2
	s_and_not1_saveexec_b32 s20, s20
; %bb.1002:                             ;   in Loop: Header=BB4_979 Depth=2
	v_cmp_lt_i16_e32 vcc_lo, -1, v118
	v_cndmask_b32_e32 v30, 0xff800000, v21, vcc_lo
	v_cmp_eq_u32_e32 vcc_lo, 0, v117
	s_delay_alu instid0(VALU_DEP_2)
	v_cndmask_b32_e32 v30, 0x7f800001, v30, vcc_lo
; %bb.1003:                             ;   in Loop: Header=BB4_979 Depth=2
	s_or_b32 exec_lo, exec_lo, s20
.LBB4_1004:                             ;   in Loop: Header=BB4_979 Depth=2
	s_delay_alu instid0(SALU_CYCLE_1)
	s_or_b32 exec_lo, exec_lo, s19
.LBB4_1005:                             ;   in Loop: Header=BB4_979 Depth=2
	s_delay_alu instid0(SALU_CYCLE_1) | instskip(NEXT) | instid1(VALU_DEP_1)
	s_or_b32 exec_lo, exec_lo, s7
	v_dual_mul_f32 v40, v56, v30 :: v_dual_mov_b32 v63, v65
	v_mov_b32_e32 v119, v65
                                        ; implicit-def: $vgpr117
	s_mov_b32 s7, exec_lo
	s_delay_alu instid0(VALU_DEP_2) | instskip(SKIP_2) | instid1(VALU_DEP_3)
	v_and_b32_e32 v62, 0x7f800000, v40
	v_and_b32_e32 v118, 0x7fffff, v40
	v_lshrrev_b32_e32 v30, 24, v40
	v_cmpx_ne_u64_e32 0x7f800000, v[62:63]
	s_xor_b32 s19, exec_lo, s7
	s_cbranch_execz .LBB4_1019
; %bb.1006:                             ;   in Loop: Header=BB4_979 Depth=2
	v_and_b32_e32 v62, 0x7fffffff, v40
	v_mov_b32_e32 v63, v65
	v_and_b32_e32 v30, 0x80, v30
                                        ; implicit-def: $vgpr117
	s_mov_b32 s7, exec_lo
	s_delay_alu instid0(VALU_DEP_2)
	v_cmpx_gt_u64_e32 0x47600001, v[62:63]
	s_xor_b32 s20, exec_lo, s7
	s_cbranch_execz .LBB4_1016
; %bb.1007:                             ;   in Loop: Header=BB4_979 Depth=2
	v_mov_b32_e32 v117, 0
	s_mov_b32 s21, exec_lo
	v_cmpx_ne_u32_e32 0, v40
	s_cbranch_execz .LBB4_1015
; %bb.1008:                             ;   in Loop: Header=BB4_979 Depth=2
	v_bfe_u32 v117, v40, 23, 8
	v_or_b32_e32 v47, 0x800000, v118
	s_delay_alu instid0(VALU_DEP_2) | instskip(SKIP_1) | instid1(VALU_DEP_2)
	v_sub_nc_u32_e32 v40, 0x71, v117
	v_cmp_gt_u32_e32 vcc_lo, 0x72, v117
	v_cndmask_b32_e32 v40, 0, v40, vcc_lo
	v_cmp_eq_u32_e32 vcc_lo, 0, v117
	v_cndmask_b32_e32 v118, v47, v118, vcc_lo
	s_delay_alu instid0(VALU_DEP_3) | instskip(NEXT) | instid1(VALU_DEP_1)
	v_cndmask_b32_e64 v44, v40, 0x70, vcc_lo
	v_dual_add_nc_u32 v40, 21, v44 :: v_dual_add_nc_u32 v62, 20, v44
	s_delay_alu instid0(VALU_DEP_1) | instskip(NEXT) | instid1(VALU_DEP_2)
	v_lshlrev_b64_e64 v[40:41], v40, -1
	v_lshlrev_b64_e64 v[62:63], v62, 1
	s_delay_alu instid0(VALU_DEP_2) | instskip(SKIP_1) | instid1(VALU_DEP_4)
	v_bfi_b32 v40, v40, 0, v118
	v_lshrrev_b64 v[118:119], v44, v[118:119]
	v_bfi_b32 v41, v41, 0, 0
	s_delay_alu instid0(VALU_DEP_1) | instskip(NEXT) | instid1(VALU_DEP_3)
	v_cmp_eq_u64_e64 s7, v[40:41], v[62:63]
	v_mov_b64_e32 v[40:41], v[118:119]
	s_and_saveexec_b32 s22, s7
; %bb.1009:                             ;   in Loop: Header=BB4_979 Depth=2
	v_bfe_u32 v40, v118, 21, 1
	v_mov_b32_e32 v41, v65
	s_delay_alu instid0(VALU_DEP_1) | instskip(NEXT) | instid1(VALU_DEP_1)
	v_add_nc_u64_e32 v[40:41], v[118:119], v[40:41]
	v_add_nc_u64_e32 v[40:41], -1, v[40:41]
; %bb.1010:                             ;   in Loop: Header=BB4_979 Depth=2
	s_or_b32 exec_lo, exec_lo, s22
	v_add_nc_u32_e32 v117, 0xffffff81, v117
	v_lshrrev_b32_e32 v119, 23, v118
	s_mov_b32 s7, exec_lo
	s_delay_alu instid0(VALU_DEP_2) | instskip(NEXT) | instid1(VALU_DEP_1)
	v_cndmask_b32_e64 v117, v117, 0xffffff82, vcc_lo
	v_add3_u32 v41, v44, v117, v119
	v_and_b32_e32 v117, 0x1fffff, v40
	s_delay_alu instid0(VALU_DEP_2) | instskip(NEXT) | instid1(VALU_DEP_2)
	v_dual_mov_b32 v119, v65 :: v_dual_add_nc_u32 v40, 14, v41
	v_add_nc_u32_e32 v118, v117, v118
                                        ; implicit-def: $vgpr117
	s_delay_alu instid0(VALU_DEP_2)
	v_cmpx_ne_u32_e32 0, v40
	s_xor_b32 s7, exec_lo, s7
; %bb.1011:                             ;   in Loop: Header=BB4_979 Depth=2
	s_delay_alu instid0(VALU_DEP_2) | instskip(SKIP_1) | instid1(VALU_DEP_1)
	v_cmp_lt_u64_e32 vcc_lo, 0xffffff, v[118:119]
	v_add_nc_u32_e32 v117, 15, v41
	v_cndmask_b32_e32 v117, v40, v117, vcc_lo
	v_cndmask_b32_e64 v40, 0, 1, vcc_lo
	s_delay_alu instid0(VALU_DEP_1)
	v_lshrrev_b64 v[118:119], v40, v[118:119]
; %bb.1012:                             ;   in Loop: Header=BB4_979 Depth=2
	s_and_not1_saveexec_b32 s7, s7
; %bb.1013:                             ;   in Loop: Header=BB4_979 Depth=2
	s_delay_alu instid0(VALU_DEP_1)
	v_bfe_u32 v117, v118, 23, 1
; %bb.1014:                             ;   in Loop: Header=BB4_979 Depth=2
	s_or_b32 exec_lo, exec_lo, s7
	s_delay_alu instid0(VALU_DEP_2) | instskip(NEXT) | instid1(VALU_DEP_2)
	v_lshrrev_b64 v[118:119], 21, v[118:119]
	v_cmp_gt_i32_e32 vcc_lo, 32, v117
	v_min_i32_e32 v40, 31, v117
	v_cmp_eq_u32_e64 s7, 0, v117
	s_delay_alu instid0(VALU_DEP_2) | instskip(SKIP_1) | instid1(VALU_DEP_2)
	v_dual_cndmask_b32 v119, 0, v119 :: v_dual_lshlrev_b32 v40, 2, v40
	v_cndmask_b32_e32 v118, 3, v118, vcc_lo
	v_and_b32_e32 v40, 0xfc, v40
	s_delay_alu instid0(VALU_DEP_2) | instskip(NEXT) | instid1(VALU_DEP_2)
	v_cmp_eq_u64_e32 vcc_lo, 0, v[118:119]
	v_and_or_b32 v117, v118, 3, v40
	s_and_b32 s7, s7, vcc_lo
	s_delay_alu instid0(VALU_DEP_1) | instid1(SALU_CYCLE_1)
	v_cndmask_b32_e64 v117, v117, 0, s7
	s_delay_alu instid0(VALU_DEP_1)
	v_or_b32_e32 v117, v117, v30
.LBB4_1015:                             ;   in Loop: Header=BB4_979 Depth=2
	s_or_b32 exec_lo, exec_lo, s21
                                        ; implicit-def: $vgpr30
.LBB4_1016:                             ;   in Loop: Header=BB4_979 Depth=2
	s_and_not1_saveexec_b32 s7, s20
; %bb.1017:                             ;   in Loop: Header=BB4_979 Depth=2
	v_or_b32_e32 v117, 0x7b, v30
; %bb.1018:                             ;   in Loop: Header=BB4_979 Depth=2
	s_or_b32 exec_lo, exec_lo, s7
                                        ; implicit-def: $vgpr40
                                        ; implicit-def: $vgpr118_vgpr119
                                        ; implicit-def: $vgpr30
.LBB4_1019:                             ;   in Loop: Header=BB4_979 Depth=2
	s_and_not1_saveexec_b32 s7, s19
	s_cbranch_execz .LBB4_1025
; %bb.1020:                             ;   in Loop: Header=BB4_979 Depth=2
	s_mov_b32 s19, exec_lo
                                        ; implicit-def: $vgpr117
	v_cmpx_ne_u64_e32 0, v[118:119]
	s_xor_b32 s19, exec_lo, s19
; %bb.1021:                             ;   in Loop: Header=BB4_979 Depth=2
	v_or_b32_e32 v117, 0x7f, v30
                                        ; implicit-def: $vgpr40
; %bb.1022:                             ;   in Loop: Header=BB4_979 Depth=2
	s_and_not1_saveexec_b32 s19, s19
; %bb.1023:                             ;   in Loop: Header=BB4_979 Depth=2
	v_cmp_lt_i32_e32 vcc_lo, -1, v40
	v_cndmask_b32_e32 v117, 0xfc, v59, vcc_lo
; %bb.1024:                             ;   in Loop: Header=BB4_979 Depth=2
	s_or_b32 exec_lo, exec_lo, s19
.LBB4_1025:                             ;   in Loop: Header=BB4_979 Depth=2
	s_delay_alu instid0(SALU_CYCLE_1) | instskip(SKIP_3) | instid1(VALU_DEP_2)
	s_or_b32 exec_lo, exec_lo, s7
	v_lshrrev_b16 v118, 8, v64
	v_mov_b32_e32 v119, 0
	s_mov_b32 s7, exec_lo
	v_cmpx_ne_u16_e32 0, v118
	s_cbranch_execz .LBB4_1035
; %bb.1026:                             ;   in Loop: Header=BB4_979 Depth=2
	v_bfrev_b32_e32 v119, 1
	s_mov_b32 s19, exec_lo
	v_cmpx_ne_u16_e32 0x80, v118
	s_cbranch_execz .LBB4_1034
; %bb.1027:                             ;   in Loop: Header=BB4_979 Depth=2
	v_and_b32_e32 v40, 0xffff, v118
	s_delay_alu instid0(VALU_DEP_1) | instskip(SKIP_1) | instid1(VALU_DEP_2)
	v_and_b32_e32 v119, 0x7c, v40
	v_and_b32_e32 v30, 3, v40
	v_cmp_ne_u32_e32 vcc_lo, 0x7c, v119
                                        ; implicit-def: $vgpr119
	s_and_saveexec_b32 s20, vcc_lo
	s_delay_alu instid0(SALU_CYCLE_1)
	s_xor_b32 s20, exec_lo, s20
	s_cbranch_execz .LBB4_1031
; %bb.1028:                             ;   in Loop: Header=BB4_979 Depth=2
	v_bfe_u32 v119, v40, 2, 5
	s_mov_b32 s21, exec_lo
	s_delay_alu instid0(VALU_DEP_1)
	v_cmpx_eq_u32_e32 0, v119
	s_cbranch_execz .LBB4_1030
; %bb.1029:                             ;   in Loop: Header=BB4_979 Depth=2
	v_clz_i32_u32_e32 v30, v30
	v_mov_b32_e32 v119, v65
	s_delay_alu instid0(VALU_DEP_2) | instskip(NEXT) | instid1(VALU_DEP_1)
	v_min_u32_e32 v30, 32, v30
	v_subrev_nc_u32_e32 v40, 29, v30
	s_delay_alu instid0(VALU_DEP_1) | instskip(SKIP_1) | instid1(VALU_DEP_2)
	v_lshlrev_b64_e32 v[118:119], v40, v[118:119]
	v_sub_nc_u32_e32 v119, 30, v30
	v_and_b32_e32 v30, 3, v118
.LBB4_1030:                             ;   in Loop: Header=BB4_979 Depth=2
	s_or_b32 exec_lo, exec_lo, s21
	v_lshlrev_b32_e32 v118, 16, v64
	s_delay_alu instid0(VALU_DEP_1) | instskip(NEXT) | instid1(VALU_DEP_1)
	v_and_b32_e32 v118, 0x80000000, v118
	v_lshl_add_u32 v118, v119, 23, v118
	s_delay_alu instid0(VALU_DEP_1) | instskip(NEXT) | instid1(VALU_DEP_1)
	v_lshl_or_b32 v30, v30, 21, v118
	v_add_nc_u32_e32 v119, 0x38000000, v30
                                        ; implicit-def: $vgpr30
.LBB4_1031:                             ;   in Loop: Header=BB4_979 Depth=2
	s_and_not1_saveexec_b32 s20, s20
; %bb.1032:                             ;   in Loop: Header=BB4_979 Depth=2
	v_cmp_lt_i16_e32 vcc_lo, -1, v64
	v_cndmask_b32_e32 v118, 0xff800000, v21, vcc_lo
	v_cmp_eq_u32_e32 vcc_lo, 0, v30
	s_delay_alu instid0(VALU_DEP_2)
	v_cndmask_b32_e32 v119, 0x7f800001, v118, vcc_lo
; %bb.1033:                             ;   in Loop: Header=BB4_979 Depth=2
	s_or_b32 exec_lo, exec_lo, s20
.LBB4_1034:                             ;   in Loop: Header=BB4_979 Depth=2
	s_delay_alu instid0(SALU_CYCLE_1)
	s_or_b32 exec_lo, exec_lo, s19
.LBB4_1035:                             ;   in Loop: Header=BB4_979 Depth=2
	s_delay_alu instid0(SALU_CYCLE_1) | instskip(NEXT) | instid1(VALU_DEP_1)
	s_or_b32 exec_lo, exec_lo, s7
	v_dual_mul_f32 v40, v56, v119 :: v_dual_mov_b32 v63, v65
	v_mov_b32_e32 v119, v65
                                        ; implicit-def: $vgpr44
	s_mov_b32 s7, exec_lo
	s_delay_alu instid0(VALU_DEP_2) | instskip(SKIP_2) | instid1(VALU_DEP_3)
	v_and_b32_e32 v62, 0x7f800000, v40
	v_and_b32_e32 v118, 0x7fffff, v40
	v_lshrrev_b32_e32 v30, 24, v40
	v_cmpx_ne_u64_e32 0x7f800000, v[62:63]
	s_xor_b32 s19, exec_lo, s7
	s_cbranch_execz .LBB4_1049
; %bb.1036:                             ;   in Loop: Header=BB4_979 Depth=2
	v_and_b32_e32 v62, 0x7fffffff, v40
	v_mov_b32_e32 v63, v65
	v_and_b32_e32 v30, 0x80, v30
                                        ; implicit-def: $vgpr44
	s_mov_b32 s7, exec_lo
	s_delay_alu instid0(VALU_DEP_2)
	v_cmpx_gt_u64_e32 0x47600001, v[62:63]
	s_xor_b32 s20, exec_lo, s7
	s_cbranch_execz .LBB4_1046
; %bb.1037:                             ;   in Loop: Header=BB4_979 Depth=2
	v_mov_b32_e32 v44, 0
	s_mov_b32 s21, exec_lo
	v_cmpx_ne_u32_e32 0, v40
	s_cbranch_execz .LBB4_1045
; %bb.1038:                             ;   in Loop: Header=BB4_979 Depth=2
	v_bfe_u32 v44, v40, 23, 8
	v_or_b32_e32 v62, 0x800000, v118
	s_delay_alu instid0(VALU_DEP_2) | instskip(SKIP_1) | instid1(VALU_DEP_2)
	v_sub_nc_u32_e32 v40, 0x71, v44
	v_cmp_gt_u32_e32 vcc_lo, 0x72, v44
	v_cndmask_b32_e32 v40, 0, v40, vcc_lo
	v_cmp_eq_u32_e32 vcc_lo, 0, v44
	s_delay_alu instid0(VALU_DEP_2) | instskip(NEXT) | instid1(VALU_DEP_1)
	v_cndmask_b32_e64 v47, v40, 0x70, vcc_lo
	v_dual_cndmask_b32 v118, v62, v118, vcc_lo :: v_dual_add_nc_u32 v40, 21, v47
	v_add_nc_u32_e32 v63, 20, v47
	s_delay_alu instid0(VALU_DEP_2) | instskip(NEXT) | instid1(VALU_DEP_2)
	v_lshlrev_b64_e64 v[40:41], v40, -1
	v_lshlrev_b64_e64 v[62:63], v63, 1
	s_delay_alu instid0(VALU_DEP_2) | instskip(SKIP_1) | instid1(VALU_DEP_4)
	v_bfi_b32 v40, v40, 0, v118
	v_lshrrev_b64 v[118:119], v47, v[118:119]
	v_bfi_b32 v41, v41, 0, 0
	s_delay_alu instid0(VALU_DEP_1) | instskip(NEXT) | instid1(VALU_DEP_3)
	v_cmp_eq_u64_e64 s7, v[40:41], v[62:63]
	v_mov_b64_e32 v[40:41], v[118:119]
	s_and_saveexec_b32 s22, s7
; %bb.1039:                             ;   in Loop: Header=BB4_979 Depth=2
	v_bfe_u32 v40, v118, 21, 1
	v_mov_b32_e32 v41, v65
	s_delay_alu instid0(VALU_DEP_1) | instskip(NEXT) | instid1(VALU_DEP_1)
	v_add_nc_u64_e32 v[40:41], v[118:119], v[40:41]
	v_add_nc_u64_e32 v[40:41], -1, v[40:41]
; %bb.1040:                             ;   in Loop: Header=BB4_979 Depth=2
	s_or_b32 exec_lo, exec_lo, s22
	v_add_nc_u32_e32 v119, 0xffffff81, v44
	v_lshrrev_b32_e32 v41, 23, v118
	s_mov_b32 s7, exec_lo
	s_delay_alu instid0(VALU_DEP_2) | instskip(NEXT) | instid1(VALU_DEP_1)
	v_cndmask_b32_e64 v119, v119, 0xffffff82, vcc_lo
	v_add3_u32 v41, v47, v119, v41
	v_and_b32_e32 v119, 0x1fffff, v40
                                        ; implicit-def: $vgpr40
	s_delay_alu instid0(VALU_DEP_1) | instskip(SKIP_1) | instid1(VALU_DEP_2)
	v_dual_add_nc_u32 v44, 14, v41 :: v_dual_add_nc_u32 v118, v119, v118
	v_mov_b32_e32 v119, v65
	v_cmpx_ne_u32_e32 0, v44
	s_xor_b32 s7, exec_lo, s7
; %bb.1041:                             ;   in Loop: Header=BB4_979 Depth=2
	s_delay_alu instid0(VALU_DEP_2) | instskip(SKIP_2) | instid1(VALU_DEP_2)
	v_cmp_lt_u64_e32 vcc_lo, 0xffffff, v[118:119]
	v_add_nc_u32_e32 v40, 15, v41
	v_cndmask_b32_e64 v41, 0, 1, vcc_lo
	v_cndmask_b32_e32 v40, v44, v40, vcc_lo
	s_delay_alu instid0(VALU_DEP_2)
	v_lshrrev_b64 v[118:119], v41, v[118:119]
; %bb.1042:                             ;   in Loop: Header=BB4_979 Depth=2
	s_and_not1_saveexec_b32 s7, s7
; %bb.1043:                             ;   in Loop: Header=BB4_979 Depth=2
	s_delay_alu instid0(VALU_DEP_1)
	v_bfe_u32 v40, v118, 23, 1
; %bb.1044:                             ;   in Loop: Header=BB4_979 Depth=2
	s_or_b32 exec_lo, exec_lo, s7
	s_delay_alu instid0(VALU_DEP_2) | instskip(NEXT) | instid1(VALU_DEP_2)
	v_lshrrev_b64 v[118:119], 21, v[118:119]
	v_cmp_gt_i32_e32 vcc_lo, 32, v40
	v_min_i32_e32 v41, 31, v40
	v_cmp_eq_u32_e64 s7, 0, v40
	s_delay_alu instid0(VALU_DEP_2) | instskip(SKIP_1) | instid1(VALU_DEP_2)
	v_dual_cndmask_b32 v119, 0, v119, vcc_lo :: v_dual_lshlrev_b32 v41, 2, v41
	v_cndmask_b32_e32 v118, 3, v118, vcc_lo
	v_and_b32_e32 v41, 0xfc, v41
	s_delay_alu instid0(VALU_DEP_2) | instskip(NEXT) | instid1(VALU_DEP_2)
	v_cmp_eq_u64_e32 vcc_lo, 0, v[118:119]
	v_and_or_b32 v118, v118, 3, v41
	s_and_b32 s7, s7, vcc_lo
	s_delay_alu instid0(VALU_DEP_1) | instid1(SALU_CYCLE_1)
	v_cndmask_b32_e64 v118, v118, 0, s7
	s_delay_alu instid0(VALU_DEP_1)
	v_or_b32_e32 v44, v118, v30
.LBB4_1045:                             ;   in Loop: Header=BB4_979 Depth=2
	s_or_b32 exec_lo, exec_lo, s21
                                        ; implicit-def: $vgpr30
.LBB4_1046:                             ;   in Loop: Header=BB4_979 Depth=2
	s_and_not1_saveexec_b32 s7, s20
; %bb.1047:                             ;   in Loop: Header=BB4_979 Depth=2
	v_or_b32_e32 v44, 0x7b, v30
; %bb.1048:                             ;   in Loop: Header=BB4_979 Depth=2
	s_or_b32 exec_lo, exec_lo, s7
                                        ; implicit-def: $vgpr40
                                        ; implicit-def: $vgpr118_vgpr119
                                        ; implicit-def: $vgpr30
.LBB4_1049:                             ;   in Loop: Header=BB4_979 Depth=2
	s_and_not1_saveexec_b32 s7, s19
	s_cbranch_execz .LBB4_1055
; %bb.1050:                             ;   in Loop: Header=BB4_979 Depth=2
	s_mov_b32 s19, exec_lo
                                        ; implicit-def: $vgpr44
	v_cmpx_ne_u64_e32 0, v[118:119]
	s_xor_b32 s19, exec_lo, s19
; %bb.1051:                             ;   in Loop: Header=BB4_979 Depth=2
	v_or_b32_e32 v44, 0x7f, v30
                                        ; implicit-def: $vgpr40
; %bb.1052:                             ;   in Loop: Header=BB4_979 Depth=2
	s_and_not1_saveexec_b32 s19, s19
; %bb.1053:                             ;   in Loop: Header=BB4_979 Depth=2
	v_cmp_lt_i32_e32 vcc_lo, -1, v40
	v_cndmask_b32_e32 v44, 0xfc, v59, vcc_lo
; %bb.1054:                             ;   in Loop: Header=BB4_979 Depth=2
	s_or_b32 exec_lo, exec_lo, s19
.LBB4_1055:                             ;   in Loop: Header=BB4_979 Depth=2
	s_delay_alu instid0(SALU_CYCLE_1) | instskip(SKIP_2) | instid1(VALU_DEP_1)
	s_or_b32 exec_lo, exec_lo, s7
	v_dual_mov_b32 v30, 0 :: v_dual_lshrrev_b32 v119, 16, v64
	s_mov_b32 s7, exec_lo
	v_and_b32_e32 v118, 0xff, v119
	s_delay_alu instid0(VALU_DEP_1)
	v_cmpx_ne_u16_e32 0, v118
	s_cbranch_execz .LBB4_1065
; %bb.1056:                             ;   in Loop: Header=BB4_979 Depth=2
	v_bfrev_b32_e32 v30, 1
	s_mov_b32 s19, exec_lo
	v_cmpx_ne_u16_e32 0x80, v118
	s_cbranch_execz .LBB4_1064
; %bb.1057:                             ;   in Loop: Header=BB4_979 Depth=2
	v_and_b32_e32 v30, 0x7c0000, v64
	v_bfe_u32 v118, v64, 16, 2
	s_delay_alu instid0(VALU_DEP_2) | instskip(SKIP_1) | instid1(SALU_CYCLE_1)
	v_cmp_ne_u32_e32 vcc_lo, 0x7c0000, v30
                                        ; implicit-def: $vgpr30
	s_and_saveexec_b32 s20, vcc_lo
	s_xor_b32 s20, exec_lo, s20
	s_cbranch_execz .LBB4_1061
; %bb.1058:                             ;   in Loop: Header=BB4_979 Depth=2
	v_bfe_u32 v119, v64, 18, 5
	v_lshrrev_b32_e32 v30, 16, v64
	s_mov_b32 s21, exec_lo
	s_delay_alu instid0(VALU_DEP_2)
	v_cmpx_eq_u32_e32 0, v119
; %bb.1059:                             ;   in Loop: Header=BB4_979 Depth=2
	v_clz_i32_u32_e32 v118, v118
	s_delay_alu instid0(VALU_DEP_1) | instskip(NEXT) | instid1(VALU_DEP_1)
	v_min_u32_e32 v40, 32, v118
	v_subrev_nc_u32_e32 v118, 29, v40
	s_delay_alu instid0(VALU_DEP_1) | instskip(NEXT) | instid1(VALU_DEP_1)
	v_lshlrev_b64_e32 v[118:119], v118, v[30:31]
	v_dual_sub_nc_u32 v119, 30, v40 :: v_dual_bitop2_b32 v118, 3, v118 bitop3:0x40
; %bb.1060:                             ;   in Loop: Header=BB4_979 Depth=2
	s_or_b32 exec_lo, exec_lo, s21
	v_lshlrev_b32_e32 v30, 24, v30
	s_delay_alu instid0(VALU_DEP_1) | instskip(NEXT) | instid1(VALU_DEP_1)
	v_and_b32_e32 v30, 0x80000000, v30
	v_lshl_add_u32 v30, v119, 23, v30
                                        ; implicit-def: $vgpr119
	s_delay_alu instid0(VALU_DEP_1) | instskip(NEXT) | instid1(VALU_DEP_1)
	v_lshl_or_b32 v30, v118, 21, v30
                                        ; implicit-def: $vgpr118
	v_add_nc_u32_e32 v30, 0x38000000, v30
.LBB4_1061:                             ;   in Loop: Header=BB4_979 Depth=2
	s_and_not1_saveexec_b32 s20, s20
; %bb.1062:                             ;   in Loop: Header=BB4_979 Depth=2
	v_bfe_i32 v30, v119, 0, 8
	s_delay_alu instid0(VALU_DEP_1) | instskip(SKIP_2) | instid1(VALU_DEP_2)
	v_cmp_lt_i16_e32 vcc_lo, -1, v30
	v_cndmask_b32_e32 v30, 0xff800000, v21, vcc_lo
	v_cmp_eq_u32_e32 vcc_lo, 0, v118
	v_cndmask_b32_e32 v30, 0x7f800001, v30, vcc_lo
; %bb.1063:                             ;   in Loop: Header=BB4_979 Depth=2
	s_or_b32 exec_lo, exec_lo, s20
.LBB4_1064:                             ;   in Loop: Header=BB4_979 Depth=2
	s_delay_alu instid0(SALU_CYCLE_1)
	s_or_b32 exec_lo, exec_lo, s19
.LBB4_1065:                             ;   in Loop: Header=BB4_979 Depth=2
	s_delay_alu instid0(SALU_CYCLE_1) | instskip(NEXT) | instid1(VALU_DEP_1)
	s_or_b32 exec_lo, exec_lo, s7
	v_dual_mul_f32 v40, v56, v30 :: v_dual_mov_b32 v63, v65
	s_delay_alu instid0(VALU_DEP_1) | instskip(SKIP_2) | instid1(VALU_DEP_2)
	v_dual_mov_b32 v119, v65 :: v_dual_lshrrev_b32 v30, 24, v40
	v_and_b32_e32 v62, 0x7f800000, v40
	v_and_b32_e32 v118, 0x7fffff, v40
	v_cmp_ne_u64_e32 vcc_lo, 0x7f800000, v[62:63]
                                        ; implicit-def: $vgpr62
	s_and_saveexec_b32 s7, vcc_lo
	s_delay_alu instid0(SALU_CYCLE_1)
	s_xor_b32 s19, exec_lo, s7
	s_cbranch_execz .LBB4_1079
; %bb.1066:                             ;   in Loop: Header=BB4_979 Depth=2
	v_and_b32_e32 v62, 0x7fffffff, v40
	v_mov_b32_e32 v63, v65
	v_and_b32_e32 v30, 0x80, v30
	s_delay_alu instid0(VALU_DEP_2) | instskip(SKIP_1) | instid1(SALU_CYCLE_1)
	v_cmp_gt_u64_e32 vcc_lo, 0x47600001, v[62:63]
                                        ; implicit-def: $vgpr62
	s_and_saveexec_b32 s7, vcc_lo
	s_xor_b32 s20, exec_lo, s7
	s_cbranch_execz .LBB4_1076
; %bb.1067:                             ;   in Loop: Header=BB4_979 Depth=2
	v_mov_b32_e32 v62, 0
	s_mov_b32 s21, exec_lo
	v_cmpx_ne_u32_e32 0, v40
	s_cbranch_execz .LBB4_1075
; %bb.1068:                             ;   in Loop: Header=BB4_979 Depth=2
	v_bfe_u32 v47, v40, 23, 8
	v_or_b32_e32 v63, 0x800000, v118
	s_delay_alu instid0(VALU_DEP_2) | instskip(SKIP_1) | instid1(VALU_DEP_2)
	v_sub_nc_u32_e32 v40, 0x71, v47
	v_cmp_gt_u32_e32 vcc_lo, 0x72, v47
	v_cndmask_b32_e32 v40, 0, v40, vcc_lo
	v_cmp_eq_u32_e32 vcc_lo, 0, v47
	s_delay_alu instid0(VALU_DEP_2) | instskip(SKIP_1) | instid1(VALU_DEP_2)
	v_cndmask_b32_e64 v62, v40, 0x70, vcc_lo
	v_cndmask_b32_e32 v118, v63, v118, vcc_lo
	v_dual_add_nc_u32 v40, 21, v62 :: v_dual_add_nc_u32 v72, 20, v62
	s_delay_alu instid0(VALU_DEP_1) | instskip(NEXT) | instid1(VALU_DEP_2)
	v_lshlrev_b64_e64 v[40:41], v40, -1
	v_lshlrev_b64_e64 v[72:73], v72, 1
	s_delay_alu instid0(VALU_DEP_2) | instskip(SKIP_1) | instid1(VALU_DEP_4)
	v_bfi_b32 v40, v40, 0, v118
	v_lshrrev_b64 v[118:119], v62, v[118:119]
	v_bfi_b32 v41, v41, 0, 0
	s_delay_alu instid0(VALU_DEP_1) | instskip(NEXT) | instid1(VALU_DEP_3)
	v_cmp_eq_u64_e64 s7, v[40:41], v[72:73]
	v_mov_b64_e32 v[40:41], v[118:119]
	s_and_saveexec_b32 s22, s7
; %bb.1069:                             ;   in Loop: Header=BB4_979 Depth=2
	v_bfe_u32 v40, v118, 21, 1
	v_mov_b32_e32 v41, v65
	s_delay_alu instid0(VALU_DEP_1) | instskip(NEXT) | instid1(VALU_DEP_1)
	v_add_nc_u64_e32 v[40:41], v[118:119], v[40:41]
	v_add_nc_u64_e32 v[40:41], -1, v[40:41]
; %bb.1070:                             ;   in Loop: Header=BB4_979 Depth=2
	s_or_b32 exec_lo, exec_lo, s22
	v_add_nc_u32_e32 v119, 0xffffff81, v47
	v_lshrrev_b32_e32 v41, 23, v118
	s_mov_b32 s7, exec_lo
	s_delay_alu instid0(VALU_DEP_2) | instskip(NEXT) | instid1(VALU_DEP_1)
	v_cndmask_b32_e64 v119, v119, 0xffffff82, vcc_lo
	v_add3_u32 v41, v62, v119, v41
	v_and_b32_e32 v119, 0x1fffff, v40
                                        ; implicit-def: $vgpr40
	s_delay_alu instid0(VALU_DEP_1) | instskip(SKIP_1) | instid1(VALU_DEP_2)
	v_dual_add_nc_u32 v47, 14, v41 :: v_dual_add_nc_u32 v118, v119, v118
	v_mov_b32_e32 v119, v65
	v_cmpx_ne_u32_e32 0, v47
	s_xor_b32 s7, exec_lo, s7
; %bb.1071:                             ;   in Loop: Header=BB4_979 Depth=2
	s_delay_alu instid0(VALU_DEP_2) | instskip(SKIP_2) | instid1(VALU_DEP_2)
	v_cmp_lt_u64_e32 vcc_lo, 0xffffff, v[118:119]
	v_add_nc_u32_e32 v40, 15, v41
	v_cndmask_b32_e64 v41, 0, 1, vcc_lo
	v_cndmask_b32_e32 v40, v47, v40, vcc_lo
	s_delay_alu instid0(VALU_DEP_2)
	v_lshrrev_b64 v[118:119], v41, v[118:119]
; %bb.1072:                             ;   in Loop: Header=BB4_979 Depth=2
	s_and_not1_saveexec_b32 s7, s7
; %bb.1073:                             ;   in Loop: Header=BB4_979 Depth=2
	s_delay_alu instid0(VALU_DEP_1)
	v_bfe_u32 v40, v118, 23, 1
; %bb.1074:                             ;   in Loop: Header=BB4_979 Depth=2
	s_or_b32 exec_lo, exec_lo, s7
	s_delay_alu instid0(VALU_DEP_2) | instskip(NEXT) | instid1(VALU_DEP_2)
	v_lshrrev_b64 v[118:119], 21, v[118:119]
	v_cmp_gt_i32_e32 vcc_lo, 32, v40
	v_min_i32_e32 v41, 31, v40
	v_cmp_eq_u32_e64 s7, 0, v40
	s_delay_alu instid0(VALU_DEP_2) | instskip(SKIP_1) | instid1(VALU_DEP_2)
	v_dual_cndmask_b32 v119, 0, v119, vcc_lo :: v_dual_lshlrev_b32 v41, 2, v41
	v_cndmask_b32_e32 v118, 3, v118, vcc_lo
	v_and_b32_e32 v41, 0xfc, v41
	s_delay_alu instid0(VALU_DEP_2) | instskip(NEXT) | instid1(VALU_DEP_2)
	v_cmp_eq_u64_e32 vcc_lo, 0, v[118:119]
	v_and_or_b32 v118, v118, 3, v41
	s_and_b32 s7, s7, vcc_lo
	s_delay_alu instid0(VALU_DEP_1) | instid1(SALU_CYCLE_1)
	v_cndmask_b32_e64 v118, v118, 0, s7
	s_delay_alu instid0(VALU_DEP_1)
	v_or_b32_e32 v62, v118, v30
.LBB4_1075:                             ;   in Loop: Header=BB4_979 Depth=2
	s_or_b32 exec_lo, exec_lo, s21
                                        ; implicit-def: $vgpr30
.LBB4_1076:                             ;   in Loop: Header=BB4_979 Depth=2
	s_and_not1_saveexec_b32 s7, s20
; %bb.1077:                             ;   in Loop: Header=BB4_979 Depth=2
	v_or_b32_e32 v62, 0x7b, v30
; %bb.1078:                             ;   in Loop: Header=BB4_979 Depth=2
	s_or_b32 exec_lo, exec_lo, s7
                                        ; implicit-def: $vgpr40
                                        ; implicit-def: $vgpr118_vgpr119
                                        ; implicit-def: $vgpr30
.LBB4_1079:                             ;   in Loop: Header=BB4_979 Depth=2
	s_and_not1_saveexec_b32 s7, s19
	s_cbranch_execz .LBB4_1085
; %bb.1080:                             ;   in Loop: Header=BB4_979 Depth=2
	s_mov_b32 s19, exec_lo
                                        ; implicit-def: $vgpr62
	v_cmpx_ne_u64_e32 0, v[118:119]
	s_xor_b32 s19, exec_lo, s19
; %bb.1081:                             ;   in Loop: Header=BB4_979 Depth=2
	v_or_b32_e32 v62, 0x7f, v30
                                        ; implicit-def: $vgpr40
; %bb.1082:                             ;   in Loop: Header=BB4_979 Depth=2
	s_and_not1_saveexec_b32 s19, s19
; %bb.1083:                             ;   in Loop: Header=BB4_979 Depth=2
	v_cmp_lt_i32_e32 vcc_lo, -1, v40
	v_cndmask_b32_e32 v62, 0xfc, v59, vcc_lo
; %bb.1084:                             ;   in Loop: Header=BB4_979 Depth=2
	s_or_b32 exec_lo, exec_lo, s19
.LBB4_1085:                             ;   in Loop: Header=BB4_979 Depth=2
	s_delay_alu instid0(SALU_CYCLE_1)
	s_or_b32 exec_lo, exec_lo, s7
	v_mov_b32_e32 v118, 0
	s_mov_b32 s7, exec_lo
	v_cmpx_lt_u32_e32 0xffffff, v64
	s_cbranch_execz .LBB4_1095
; %bb.1086:                             ;   in Loop: Header=BB4_979 Depth=2
	v_lshrrev_b32_e32 v30, 24, v64
	v_bfrev_b32_e32 v118, 1
	s_mov_b32 s19, exec_lo
	s_delay_alu instid0(VALU_DEP_2)
	v_cmpx_ne_u32_e32 0x80, v30
	s_cbranch_execz .LBB4_1094
; %bb.1087:                             ;   in Loop: Header=BB4_979 Depth=2
	v_and_b32_e32 v118, 0x7c000000, v64
	v_bfe_u32 v119, v64, 24, 2
	s_delay_alu instid0(VALU_DEP_2) | instskip(SKIP_1) | instid1(SALU_CYCLE_1)
	v_cmp_ne_u32_e32 vcc_lo, 0x7c000000, v118
                                        ; implicit-def: $vgpr118
	s_and_saveexec_b32 s20, vcc_lo
	s_xor_b32 s20, exec_lo, s20
	s_cbranch_execz .LBB4_1091
; %bb.1088:                             ;   in Loop: Header=BB4_979 Depth=2
	v_bfe_u32 v118, v64, 26, 5
	s_mov_b32 s21, exec_lo
	s_delay_alu instid0(VALU_DEP_1)
	v_cmpx_eq_u32_e32 0, v118
; %bb.1089:                             ;   in Loop: Header=BB4_979 Depth=2
	v_clz_i32_u32_e32 v118, v119
	s_delay_alu instid0(VALU_DEP_1) | instskip(NEXT) | instid1(VALU_DEP_1)
	v_min_u32_e32 v118, 32, v118
	v_subrev_nc_u32_e32 v119, 29, v118
	s_delay_alu instid0(VALU_DEP_1) | instskip(NEXT) | instid1(VALU_DEP_1)
	v_lshlrev_b64_e32 v[40:41], v119, v[30:31]
	v_dual_sub_nc_u32 v118, 30, v118 :: v_dual_bitop2_b32 v119, 3, v40 bitop3:0x40
; %bb.1090:                             ;   in Loop: Header=BB4_979 Depth=2
	s_or_b32 exec_lo, exec_lo, s21
	v_and_b32_e32 v30, 0x80000000, v64
	s_delay_alu instid0(VALU_DEP_1) | instskip(NEXT) | instid1(VALU_DEP_1)
	v_lshl_add_u32 v30, v118, 23, v30
	v_lshl_or_b32 v30, v119, 21, v30
                                        ; implicit-def: $vgpr119
	s_delay_alu instid0(VALU_DEP_1)
	v_add_nc_u32_e32 v118, 0x38000000, v30
.LBB4_1091:                             ;   in Loop: Header=BB4_979 Depth=2
	s_and_not1_saveexec_b32 s20, s20
; %bb.1092:                             ;   in Loop: Header=BB4_979 Depth=2
	v_cmp_lt_i32_e32 vcc_lo, -1, v64
	v_cndmask_b32_e32 v30, 0xff800000, v21, vcc_lo
	v_cmp_eq_u32_e32 vcc_lo, 0, v119
	s_delay_alu instid0(VALU_DEP_2)
	v_cndmask_b32_e32 v118, 0x7f800001, v30, vcc_lo
; %bb.1093:                             ;   in Loop: Header=BB4_979 Depth=2
	s_or_b32 exec_lo, exec_lo, s20
.LBB4_1094:                             ;   in Loop: Header=BB4_979 Depth=2
	s_delay_alu instid0(SALU_CYCLE_1)
	s_or_b32 exec_lo, exec_lo, s19
.LBB4_1095:                             ;   in Loop: Header=BB4_979 Depth=2
	s_delay_alu instid0(SALU_CYCLE_1) | instskip(NEXT) | instid1(VALU_DEP_1)
	s_or_b32 exec_lo, exec_lo, s7
	v_dual_mul_f32 v118, v56, v118 :: v_dual_mov_b32 v41, v65
                                        ; implicit-def: $vgpr63
	s_mov_b32 s7, exec_lo
	s_delay_alu instid0(VALU_DEP_1) | instskip(SKIP_2) | instid1(VALU_DEP_3)
	v_and_b32_e32 v40, 0x7f800000, v118
	v_and_b32_e32 v64, 0x7fffff, v118
	v_lshrrev_b32_e32 v30, 24, v118
	v_cmpx_ne_u64_e32 0x7f800000, v[40:41]
	s_xor_b32 s19, exec_lo, s7
	s_cbranch_execz .LBB4_1109
; %bb.1096:                             ;   in Loop: Header=BB4_979 Depth=2
	v_and_b32_e32 v40, 0x7fffffff, v118
	v_mov_b32_e32 v41, v65
	v_and_b32_e32 v30, 0x80, v30
                                        ; implicit-def: $vgpr63
	s_mov_b32 s7, exec_lo
	s_delay_alu instid0(VALU_DEP_2)
	v_cmpx_gt_u64_e32 0x47600001, v[40:41]
	s_xor_b32 s20, exec_lo, s7
	s_cbranch_execz .LBB4_1106
; %bb.1097:                             ;   in Loop: Header=BB4_979 Depth=2
	v_mov_b32_e32 v63, 0
	s_mov_b32 s21, exec_lo
	v_cmpx_ne_u32_e32 0, v118
	s_cbranch_execz .LBB4_1105
; %bb.1098:                             ;   in Loop: Header=BB4_979 Depth=2
	v_bfe_u32 v47, v118, 23, 8
	v_or_b32_e32 v40, 0x800000, v64
	s_delay_alu instid0(VALU_DEP_2) | instskip(SKIP_1) | instid1(VALU_DEP_2)
	v_sub_nc_u32_e32 v118, 0x71, v47
	v_cmp_gt_u32_e32 vcc_lo, 0x72, v47
	v_cndmask_b32_e32 v118, 0, v118, vcc_lo
	v_cmp_eq_u32_e32 vcc_lo, 0, v47
	s_delay_alu instid0(VALU_DEP_2) | instskip(NEXT) | instid1(VALU_DEP_1)
	v_cndmask_b32_e64 v63, v118, 0x70, vcc_lo
	v_dual_cndmask_b32 v64, v40, v64, vcc_lo :: v_dual_add_nc_u32 v118, 21, v63
	v_add_nc_u32_e32 v41, 20, v63
	s_delay_alu instid0(VALU_DEP_2) | instskip(NEXT) | instid1(VALU_DEP_2)
	v_lshlrev_b64_e64 v[118:119], v118, -1
	v_lshlrev_b64_e64 v[40:41], v41, 1
	s_delay_alu instid0(VALU_DEP_2) | instskip(NEXT) | instid1(VALU_DEP_3)
	v_bfi_b32 v73, v119, 0, 0
	v_bfi_b32 v72, v118, 0, v64
	v_lshrrev_b64 v[118:119], v63, v[64:65]
	s_delay_alu instid0(VALU_DEP_2) | instskip(NEXT) | instid1(VALU_DEP_2)
	v_cmp_eq_u64_e64 s7, v[72:73], v[40:41]
	v_mov_b64_e32 v[40:41], v[118:119]
	s_and_saveexec_b32 s22, s7
; %bb.1099:                             ;   in Loop: Header=BB4_979 Depth=2
	v_bfe_u32 v64, v118, 21, 1
	s_delay_alu instid0(VALU_DEP_1) | instskip(NEXT) | instid1(VALU_DEP_1)
	v_add_nc_u64_e32 v[40:41], v[118:119], v[64:65]
	v_add_nc_u64_e32 v[40:41], -1, v[40:41]
; %bb.1100:                             ;   in Loop: Header=BB4_979 Depth=2
	s_or_b32 exec_lo, exec_lo, s22
	v_add_nc_u32_e32 v64, 0xffffff81, v47
	v_lshrrev_b32_e32 v119, 23, v118
	s_mov_b32 s7, exec_lo
	s_delay_alu instid0(VALU_DEP_2) | instskip(NEXT) | instid1(VALU_DEP_1)
	v_cndmask_b32_e64 v64, v64, 0xffffff82, vcc_lo
	v_add3_u32 v41, v63, v64, v119
	v_and_b32_e32 v64, 0x1fffff, v40
                                        ; implicit-def: $vgpr40
	s_delay_alu instid0(VALU_DEP_1) | instskip(NEXT) | instid1(VALU_DEP_1)
	v_dual_add_nc_u32 v47, 14, v41 :: v_dual_add_nc_u32 v64, v64, v118
                                        ; implicit-def: $vgpr118_vgpr119
	v_cmpx_ne_u32_e32 0, v47
	s_xor_b32 s7, exec_lo, s7
; %bb.1101:                             ;   in Loop: Header=BB4_979 Depth=2
	s_delay_alu instid0(VALU_DEP_2) | instskip(SKIP_1) | instid1(VALU_DEP_1)
	v_cmp_lt_u64_e32 vcc_lo, 0xffffff, v[64:65]
	v_add_nc_u32_e32 v118, 15, v41
	v_cndmask_b32_e32 v40, v47, v118, vcc_lo
	v_cndmask_b32_e64 v118, 0, 1, vcc_lo
	s_delay_alu instid0(VALU_DEP_1)
	v_lshrrev_b64 v[118:119], v118, v[64:65]
; %bb.1102:                             ;   in Loop: Header=BB4_979 Depth=2
	s_and_not1_saveexec_b32 s7, s7
; %bb.1103:                             ;   in Loop: Header=BB4_979 Depth=2
	v_mov_b64_e32 v[118:119], v[64:65]
	v_bfe_u32 v40, v64, 23, 1
; %bb.1104:                             ;   in Loop: Header=BB4_979 Depth=2
	s_or_b32 exec_lo, exec_lo, s7
	s_delay_alu instid0(VALU_DEP_2) | instskip(NEXT) | instid1(VALU_DEP_2)
	v_lshrrev_b64 v[118:119], 21, v[118:119]
	v_cmp_gt_i32_e32 vcc_lo, 32, v40
	v_min_i32_e32 v64, 31, v40
	v_cmp_eq_u32_e64 s7, 0, v40
	s_delay_alu instid0(VALU_DEP_2) | instskip(SKIP_1) | instid1(VALU_DEP_2)
	v_dual_cndmask_b32 v119, 0, v119 :: v_dual_lshlrev_b32 v64, 2, v64
	v_cndmask_b32_e32 v118, 3, v118, vcc_lo
	v_and_b32_e32 v64, 0xfc, v64
	s_delay_alu instid0(VALU_DEP_2) | instskip(NEXT) | instid1(VALU_DEP_2)
	v_cmp_eq_u64_e32 vcc_lo, 0, v[118:119]
	v_and_or_b32 v64, v118, 3, v64
	s_and_b32 s7, s7, vcc_lo
	s_delay_alu instid0(VALU_DEP_1) | instid1(SALU_CYCLE_1)
	v_cndmask_b32_e64 v64, v64, 0, s7
	s_delay_alu instid0(VALU_DEP_1)
	v_or_b32_e32 v63, v64, v30
.LBB4_1105:                             ;   in Loop: Header=BB4_979 Depth=2
	s_or_b32 exec_lo, exec_lo, s21
                                        ; implicit-def: $vgpr30
.LBB4_1106:                             ;   in Loop: Header=BB4_979 Depth=2
	s_and_not1_saveexec_b32 s7, s20
; %bb.1107:                             ;   in Loop: Header=BB4_979 Depth=2
	v_or_b32_e32 v63, 0x7b, v30
; %bb.1108:                             ;   in Loop: Header=BB4_979 Depth=2
	s_or_b32 exec_lo, exec_lo, s7
                                        ; implicit-def: $vgpr118
                                        ; implicit-def: $vgpr30
.LBB4_1109:                             ;   in Loop: Header=BB4_979 Depth=2
	s_and_not1_saveexec_b32 s7, s19
	s_cbranch_execz .LBB4_1115
; %bb.1110:                             ;   in Loop: Header=BB4_979 Depth=2
	s_mov_b32 s19, exec_lo
                                        ; implicit-def: $vgpr63
	v_cmpx_ne_u64_e32 0, v[64:65]
	s_xor_b32 s19, exec_lo, s19
; %bb.1111:                             ;   in Loop: Header=BB4_979 Depth=2
	v_or_b32_e32 v63, 0x7f, v30
                                        ; implicit-def: $vgpr118
; %bb.1112:                             ;   in Loop: Header=BB4_979 Depth=2
	s_and_not1_saveexec_b32 s19, s19
; %bb.1113:                             ;   in Loop: Header=BB4_979 Depth=2
	v_cmp_lt_i32_e32 vcc_lo, -1, v118
	v_cndmask_b32_e32 v63, 0xfc, v59, vcc_lo
; %bb.1114:                             ;   in Loop: Header=BB4_979 Depth=2
	s_or_b32 exec_lo, exec_lo, s19
.LBB4_1115:                             ;   in Loop: Header=BB4_979 Depth=2
	s_delay_alu instid0(SALU_CYCLE_1) | instskip(SKIP_1) | instid1(VALU_DEP_1)
	s_or_b32 exec_lo, exec_lo, s7
	v_alignbit_b32 v64, v43, v45, v46
	v_and_b32_e32 v30, 0xff, v64
	s_delay_alu instid0(VALU_DEP_1)
	v_cmp_ne_u16_e32 vcc_lo, 0, v30
	v_mov_b32_e32 v30, 0
	s_and_saveexec_b32 s7, vcc_lo
	s_cbranch_execz .LBB4_1125
; %bb.1116:                             ;   in Loop: Header=BB4_979 Depth=2
	v_bfe_i32 v119, v64, 0, 8
	v_bfrev_b32_e32 v30, 1
	s_mov_b32 s19, exec_lo
	s_delay_alu instid0(VALU_DEP_2)
	v_cmpx_ne_u16_e32 0xff80, v119
	s_cbranch_execz .LBB4_1124
; %bb.1117:                             ;   in Loop: Header=BB4_979 Depth=2
	v_and_b32_e32 v30, 0x7c, v64
	v_and_b32_e32 v118, 3, v64
	s_delay_alu instid0(VALU_DEP_2) | instskip(SKIP_1) | instid1(SALU_CYCLE_1)
	v_cmp_ne_u32_e32 vcc_lo, 0x7c, v30
                                        ; implicit-def: $vgpr30
	s_and_saveexec_b32 s20, vcc_lo
	s_xor_b32 s20, exec_lo, s20
	s_cbranch_execz .LBB4_1121
; %bb.1118:                             ;   in Loop: Header=BB4_979 Depth=2
	v_bfe_u32 v30, v64, 2, 5
	s_mov_b32 s21, exec_lo
	s_delay_alu instid0(VALU_DEP_1)
	v_cmpx_eq_u32_e32 0, v30
; %bb.1119:                             ;   in Loop: Header=BB4_979 Depth=2
	v_clz_i32_u32_e32 v30, v118
	s_delay_alu instid0(VALU_DEP_1) | instskip(NEXT) | instid1(VALU_DEP_1)
	v_min_u32_e32 v30, 32, v30
	v_subrev_nc_u32_e32 v118, 29, v30
	v_sub_nc_u32_e32 v30, 30, v30
	s_delay_alu instid0(VALU_DEP_2) | instskip(NEXT) | instid1(VALU_DEP_1)
	v_lshlrev_b64_e32 v[118:119], v118, v[64:65]
	v_and_b32_e32 v118, 3, v118
; %bb.1120:                             ;   in Loop: Header=BB4_979 Depth=2
	s_or_b32 exec_lo, exec_lo, s21
	v_lshlrev_b32_e32 v119, 24, v64
	s_delay_alu instid0(VALU_DEP_1) | instskip(NEXT) | instid1(VALU_DEP_1)
	v_and_b32_e32 v119, 0x80000000, v119
	v_lshl_add_u32 v30, v30, 23, v119
                                        ; implicit-def: $vgpr119
	s_delay_alu instid0(VALU_DEP_1) | instskip(NEXT) | instid1(VALU_DEP_1)
	v_lshl_or_b32 v30, v118, 21, v30
                                        ; implicit-def: $vgpr118
	v_add_nc_u32_e32 v30, 0x38000000, v30
.LBB4_1121:                             ;   in Loop: Header=BB4_979 Depth=2
	s_and_not1_saveexec_b32 s20, s20
; %bb.1122:                             ;   in Loop: Header=BB4_979 Depth=2
	v_cmp_lt_i16_e32 vcc_lo, -1, v119
	v_cndmask_b32_e32 v30, 0xff800000, v21, vcc_lo
	v_cmp_eq_u32_e32 vcc_lo, 0, v118
	s_delay_alu instid0(VALU_DEP_2)
	v_cndmask_b32_e32 v30, 0x7f800001, v30, vcc_lo
; %bb.1123:                             ;   in Loop: Header=BB4_979 Depth=2
	s_or_b32 exec_lo, exec_lo, s20
.LBB4_1124:                             ;   in Loop: Header=BB4_979 Depth=2
	s_delay_alu instid0(SALU_CYCLE_1)
	s_or_b32 exec_lo, exec_lo, s19
.LBB4_1125:                             ;   in Loop: Header=BB4_979 Depth=2
	s_delay_alu instid0(SALU_CYCLE_1) | instskip(NEXT) | instid1(VALU_DEP_1)
	s_or_b32 exec_lo, exec_lo, s7
	v_dual_mul_f32 v40, v56, v30 :: v_dual_mov_b32 v47, v65
	v_mov_b32_e32 v119, v65
                                        ; implicit-def: $vgpr43
	s_mov_b32 s7, exec_lo
	s_delay_alu instid0(VALU_DEP_2) | instskip(SKIP_2) | instid1(VALU_DEP_3)
	v_and_b32_e32 v46, 0x7f800000, v40
	v_and_b32_e32 v118, 0x7fffff, v40
	v_lshrrev_b32_e32 v30, 24, v40
	v_cmpx_ne_u64_e32 0x7f800000, v[46:47]
	s_xor_b32 s19, exec_lo, s7
	s_cbranch_execz .LBB4_1139
; %bb.1126:                             ;   in Loop: Header=BB4_979 Depth=2
	v_and_b32_e32 v46, 0x7fffffff, v40
	v_mov_b32_e32 v47, v65
	v_and_b32_e32 v30, 0x80, v30
                                        ; implicit-def: $vgpr43
	s_mov_b32 s7, exec_lo
	s_delay_alu instid0(VALU_DEP_2)
	v_cmpx_gt_u64_e32 0x47600001, v[46:47]
	s_xor_b32 s20, exec_lo, s7
	s_cbranch_execz .LBB4_1136
; %bb.1127:                             ;   in Loop: Header=BB4_979 Depth=2
	v_mov_b32_e32 v43, 0
	s_mov_b32 s21, exec_lo
	v_cmpx_ne_u32_e32 0, v40
	s_cbranch_execz .LBB4_1135
; %bb.1128:                             ;   in Loop: Header=BB4_979 Depth=2
	v_bfe_u32 v43, v40, 23, 8
	v_or_b32_e32 v46, 0x800000, v118
	s_delay_alu instid0(VALU_DEP_2) | instskip(SKIP_1) | instid1(VALU_DEP_2)
	v_sub_nc_u32_e32 v40, 0x71, v43
	v_cmp_gt_u32_e32 vcc_lo, 0x72, v43
	v_cndmask_b32_e32 v40, 0, v40, vcc_lo
	v_cmp_eq_u32_e32 vcc_lo, 0, v43
	s_delay_alu instid0(VALU_DEP_2) | instskip(NEXT) | instid1(VALU_DEP_1)
	v_cndmask_b32_e64 v45, v40, 0x70, vcc_lo
	v_dual_cndmask_b32 v118, v46, v118, vcc_lo :: v_dual_add_nc_u32 v40, 21, v45
	v_add_nc_u32_e32 v47, 20, v45
	s_delay_alu instid0(VALU_DEP_2) | instskip(NEXT) | instid1(VALU_DEP_2)
	v_lshlrev_b64_e64 v[40:41], v40, -1
	v_lshlrev_b64_e64 v[46:47], v47, 1
	s_delay_alu instid0(VALU_DEP_2) | instskip(SKIP_1) | instid1(VALU_DEP_4)
	v_bfi_b32 v40, v40, 0, v118
	v_lshrrev_b64 v[118:119], v45, v[118:119]
	v_bfi_b32 v41, v41, 0, 0
	s_delay_alu instid0(VALU_DEP_1) | instskip(NEXT) | instid1(VALU_DEP_3)
	v_cmp_eq_u64_e64 s7, v[40:41], v[46:47]
	v_mov_b64_e32 v[40:41], v[118:119]
	s_and_saveexec_b32 s22, s7
; %bb.1129:                             ;   in Loop: Header=BB4_979 Depth=2
	v_bfe_u32 v40, v118, 21, 1
	v_mov_b32_e32 v41, v65
	s_delay_alu instid0(VALU_DEP_1) | instskip(NEXT) | instid1(VALU_DEP_1)
	v_add_nc_u64_e32 v[40:41], v[118:119], v[40:41]
	v_add_nc_u64_e32 v[40:41], -1, v[40:41]
; %bb.1130:                             ;   in Loop: Header=BB4_979 Depth=2
	s_or_b32 exec_lo, exec_lo, s22
	v_add_nc_u32_e32 v119, 0xffffff81, v43
	v_lshrrev_b32_e32 v41, 23, v118
	s_mov_b32 s7, exec_lo
	s_delay_alu instid0(VALU_DEP_2) | instskip(NEXT) | instid1(VALU_DEP_1)
	v_cndmask_b32_e64 v119, v119, 0xffffff82, vcc_lo
	v_add3_u32 v41, v45, v119, v41
	v_and_b32_e32 v119, 0x1fffff, v40
                                        ; implicit-def: $vgpr40
	s_delay_alu instid0(VALU_DEP_1) | instskip(SKIP_1) | instid1(VALU_DEP_2)
	v_dual_add_nc_u32 v43, 14, v41 :: v_dual_add_nc_u32 v118, v119, v118
	v_mov_b32_e32 v119, v65
	v_cmpx_ne_u32_e32 0, v43
	s_xor_b32 s7, exec_lo, s7
; %bb.1131:                             ;   in Loop: Header=BB4_979 Depth=2
	s_delay_alu instid0(VALU_DEP_2) | instskip(SKIP_2) | instid1(VALU_DEP_2)
	v_cmp_lt_u64_e32 vcc_lo, 0xffffff, v[118:119]
	v_add_nc_u32_e32 v40, 15, v41
	v_cndmask_b32_e64 v41, 0, 1, vcc_lo
	v_cndmask_b32_e32 v40, v43, v40, vcc_lo
	s_delay_alu instid0(VALU_DEP_2)
	v_lshrrev_b64 v[118:119], v41, v[118:119]
; %bb.1132:                             ;   in Loop: Header=BB4_979 Depth=2
	s_and_not1_saveexec_b32 s7, s7
; %bb.1133:                             ;   in Loop: Header=BB4_979 Depth=2
	s_delay_alu instid0(VALU_DEP_1)
	v_bfe_u32 v40, v118, 23, 1
; %bb.1134:                             ;   in Loop: Header=BB4_979 Depth=2
	s_or_b32 exec_lo, exec_lo, s7
	s_delay_alu instid0(VALU_DEP_2) | instskip(NEXT) | instid1(VALU_DEP_2)
	v_lshrrev_b64 v[118:119], 21, v[118:119]
	v_cmp_gt_i32_e32 vcc_lo, 32, v40
	v_min_i32_e32 v41, 31, v40
	v_cmp_eq_u32_e64 s7, 0, v40
	s_delay_alu instid0(VALU_DEP_2) | instskip(SKIP_1) | instid1(VALU_DEP_2)
	v_dual_cndmask_b32 v119, 0, v119, vcc_lo :: v_dual_lshlrev_b32 v41, 2, v41
	v_cndmask_b32_e32 v118, 3, v118, vcc_lo
	v_and_b32_e32 v41, 0xfc, v41
	s_delay_alu instid0(VALU_DEP_2) | instskip(NEXT) | instid1(VALU_DEP_2)
	v_cmp_eq_u64_e32 vcc_lo, 0, v[118:119]
	v_and_or_b32 v118, v118, 3, v41
	s_and_b32 s7, s7, vcc_lo
	s_delay_alu instid0(VALU_DEP_1) | instid1(SALU_CYCLE_1)
	v_cndmask_b32_e64 v118, v118, 0, s7
	s_delay_alu instid0(VALU_DEP_1)
	v_or_b32_e32 v43, v118, v30
.LBB4_1135:                             ;   in Loop: Header=BB4_979 Depth=2
	s_or_b32 exec_lo, exec_lo, s21
                                        ; implicit-def: $vgpr30
.LBB4_1136:                             ;   in Loop: Header=BB4_979 Depth=2
	s_and_not1_saveexec_b32 s7, s20
; %bb.1137:                             ;   in Loop: Header=BB4_979 Depth=2
	v_or_b32_e32 v43, 0x7b, v30
; %bb.1138:                             ;   in Loop: Header=BB4_979 Depth=2
	s_or_b32 exec_lo, exec_lo, s7
                                        ; implicit-def: $vgpr40
                                        ; implicit-def: $vgpr118_vgpr119
                                        ; implicit-def: $vgpr30
.LBB4_1139:                             ;   in Loop: Header=BB4_979 Depth=2
	s_and_not1_saveexec_b32 s7, s19
	s_cbranch_execz .LBB4_1145
; %bb.1140:                             ;   in Loop: Header=BB4_979 Depth=2
	s_mov_b32 s19, exec_lo
                                        ; implicit-def: $vgpr43
	v_cmpx_ne_u64_e32 0, v[118:119]
	s_xor_b32 s19, exec_lo, s19
; %bb.1141:                             ;   in Loop: Header=BB4_979 Depth=2
	v_or_b32_e32 v43, 0x7f, v30
                                        ; implicit-def: $vgpr40
; %bb.1142:                             ;   in Loop: Header=BB4_979 Depth=2
	s_and_not1_saveexec_b32 s19, s19
; %bb.1143:                             ;   in Loop: Header=BB4_979 Depth=2
	v_cmp_lt_i32_e32 vcc_lo, -1, v40
	v_cndmask_b32_e32 v43, 0xfc, v59, vcc_lo
; %bb.1144:                             ;   in Loop: Header=BB4_979 Depth=2
	s_or_b32 exec_lo, exec_lo, s19
.LBB4_1145:                             ;   in Loop: Header=BB4_979 Depth=2
	s_delay_alu instid0(SALU_CYCLE_1) | instskip(SKIP_3) | instid1(VALU_DEP_2)
	s_or_b32 exec_lo, exec_lo, s7
	v_lshrrev_b16 v118, 8, v64
	v_mov_b32_e32 v119, 0
	s_mov_b32 s7, exec_lo
	v_cmpx_ne_u16_e32 0, v118
	s_cbranch_execz .LBB4_1155
; %bb.1146:                             ;   in Loop: Header=BB4_979 Depth=2
	v_bfrev_b32_e32 v119, 1
	s_mov_b32 s19, exec_lo
	v_cmpx_ne_u16_e32 0x80, v118
	s_cbranch_execz .LBB4_1154
; %bb.1147:                             ;   in Loop: Header=BB4_979 Depth=2
	v_and_b32_e32 v40, 0xffff, v118
	s_delay_alu instid0(VALU_DEP_1) | instskip(SKIP_1) | instid1(VALU_DEP_2)
	v_and_b32_e32 v119, 0x7c, v40
	v_and_b32_e32 v30, 3, v40
	v_cmp_ne_u32_e32 vcc_lo, 0x7c, v119
                                        ; implicit-def: $vgpr119
	s_and_saveexec_b32 s20, vcc_lo
	s_delay_alu instid0(SALU_CYCLE_1)
	s_xor_b32 s20, exec_lo, s20
	s_cbranch_execz .LBB4_1151
; %bb.1148:                             ;   in Loop: Header=BB4_979 Depth=2
	v_bfe_u32 v119, v40, 2, 5
	s_mov_b32 s21, exec_lo
	s_delay_alu instid0(VALU_DEP_1)
	v_cmpx_eq_u32_e32 0, v119
	s_cbranch_execz .LBB4_1150
; %bb.1149:                             ;   in Loop: Header=BB4_979 Depth=2
	v_clz_i32_u32_e32 v30, v30
	v_mov_b32_e32 v119, v65
	s_delay_alu instid0(VALU_DEP_2) | instskip(NEXT) | instid1(VALU_DEP_1)
	v_min_u32_e32 v30, 32, v30
	v_subrev_nc_u32_e32 v40, 29, v30
	s_delay_alu instid0(VALU_DEP_1) | instskip(SKIP_1) | instid1(VALU_DEP_2)
	v_lshlrev_b64_e32 v[118:119], v40, v[118:119]
	v_sub_nc_u32_e32 v119, 30, v30
	v_and_b32_e32 v30, 3, v118
.LBB4_1150:                             ;   in Loop: Header=BB4_979 Depth=2
	s_or_b32 exec_lo, exec_lo, s21
	v_lshlrev_b32_e32 v118, 16, v64
	s_delay_alu instid0(VALU_DEP_1) | instskip(NEXT) | instid1(VALU_DEP_1)
	v_and_b32_e32 v118, 0x80000000, v118
	v_lshl_add_u32 v118, v119, 23, v118
	s_delay_alu instid0(VALU_DEP_1) | instskip(NEXT) | instid1(VALU_DEP_1)
	v_lshl_or_b32 v30, v30, 21, v118
	v_add_nc_u32_e32 v119, 0x38000000, v30
                                        ; implicit-def: $vgpr30
.LBB4_1151:                             ;   in Loop: Header=BB4_979 Depth=2
	s_and_not1_saveexec_b32 s20, s20
; %bb.1152:                             ;   in Loop: Header=BB4_979 Depth=2
	v_cmp_lt_i16_e32 vcc_lo, -1, v64
	v_cndmask_b32_e32 v118, 0xff800000, v21, vcc_lo
	v_cmp_eq_u32_e32 vcc_lo, 0, v30
	s_delay_alu instid0(VALU_DEP_2)
	v_cndmask_b32_e32 v119, 0x7f800001, v118, vcc_lo
; %bb.1153:                             ;   in Loop: Header=BB4_979 Depth=2
	s_or_b32 exec_lo, exec_lo, s20
.LBB4_1154:                             ;   in Loop: Header=BB4_979 Depth=2
	s_delay_alu instid0(SALU_CYCLE_1)
	s_or_b32 exec_lo, exec_lo, s19
.LBB4_1155:                             ;   in Loop: Header=BB4_979 Depth=2
	s_delay_alu instid0(SALU_CYCLE_1) | instskip(NEXT) | instid1(VALU_DEP_1)
	s_or_b32 exec_lo, exec_lo, s7
	v_dual_mul_f32 v40, v56, v119 :: v_dual_mov_b32 v47, v65
	v_mov_b32_e32 v119, v65
                                        ; implicit-def: $vgpr45
	s_mov_b32 s7, exec_lo
	s_delay_alu instid0(VALU_DEP_2) | instskip(SKIP_2) | instid1(VALU_DEP_3)
	v_and_b32_e32 v46, 0x7f800000, v40
	v_and_b32_e32 v118, 0x7fffff, v40
	v_lshrrev_b32_e32 v30, 24, v40
	v_cmpx_ne_u64_e32 0x7f800000, v[46:47]
	s_xor_b32 s19, exec_lo, s7
	s_cbranch_execz .LBB4_1169
; %bb.1156:                             ;   in Loop: Header=BB4_979 Depth=2
	v_and_b32_e32 v46, 0x7fffffff, v40
	v_mov_b32_e32 v47, v65
	v_and_b32_e32 v30, 0x80, v30
                                        ; implicit-def: $vgpr45
	s_mov_b32 s7, exec_lo
	s_delay_alu instid0(VALU_DEP_2)
	v_cmpx_gt_u64_e32 0x47600001, v[46:47]
	s_xor_b32 s20, exec_lo, s7
	s_cbranch_execz .LBB4_1166
; %bb.1157:                             ;   in Loop: Header=BB4_979 Depth=2
	v_mov_b32_e32 v45, 0
	s_mov_b32 s21, exec_lo
	v_cmpx_ne_u32_e32 0, v40
	s_cbranch_execz .LBB4_1165
; %bb.1158:                             ;   in Loop: Header=BB4_979 Depth=2
	v_bfe_u32 v45, v40, 23, 8
	v_or_b32_e32 v47, 0x800000, v118
	s_delay_alu instid0(VALU_DEP_2) | instskip(SKIP_1) | instid1(VALU_DEP_2)
	v_sub_nc_u32_e32 v40, 0x71, v45
	v_cmp_gt_u32_e32 vcc_lo, 0x72, v45
	v_cndmask_b32_e32 v40, 0, v40, vcc_lo
	v_cmp_eq_u32_e32 vcc_lo, 0, v45
	s_delay_alu instid0(VALU_DEP_2) | instskip(SKIP_1) | instid1(VALU_DEP_2)
	v_cndmask_b32_e64 v46, v40, 0x70, vcc_lo
	v_cndmask_b32_e32 v118, v47, v118, vcc_lo
	v_dual_add_nc_u32 v40, 21, v46 :: v_dual_add_nc_u32 v72, 20, v46
	s_delay_alu instid0(VALU_DEP_1) | instskip(NEXT) | instid1(VALU_DEP_2)
	v_lshlrev_b64_e64 v[40:41], v40, -1
	v_lshlrev_b64_e64 v[72:73], v72, 1
	s_delay_alu instid0(VALU_DEP_2) | instskip(SKIP_1) | instid1(VALU_DEP_4)
	v_bfi_b32 v40, v40, 0, v118
	v_lshrrev_b64 v[118:119], v46, v[118:119]
	v_bfi_b32 v41, v41, 0, 0
	s_delay_alu instid0(VALU_DEP_1) | instskip(NEXT) | instid1(VALU_DEP_3)
	v_cmp_eq_u64_e64 s7, v[40:41], v[72:73]
	v_mov_b64_e32 v[40:41], v[118:119]
	s_and_saveexec_b32 s22, s7
; %bb.1159:                             ;   in Loop: Header=BB4_979 Depth=2
	v_bfe_u32 v40, v118, 21, 1
	v_mov_b32_e32 v41, v65
	s_delay_alu instid0(VALU_DEP_1) | instskip(NEXT) | instid1(VALU_DEP_1)
	v_add_nc_u64_e32 v[40:41], v[118:119], v[40:41]
	v_add_nc_u64_e32 v[40:41], -1, v[40:41]
; %bb.1160:                             ;   in Loop: Header=BB4_979 Depth=2
	s_or_b32 exec_lo, exec_lo, s22
	v_add_nc_u32_e32 v119, 0xffffff81, v45
	v_lshrrev_b32_e32 v41, 23, v118
	s_mov_b32 s7, exec_lo
	s_delay_alu instid0(VALU_DEP_2) | instskip(NEXT) | instid1(VALU_DEP_1)
	v_cndmask_b32_e64 v119, v119, 0xffffff82, vcc_lo
	v_add3_u32 v41, v46, v119, v41
	v_and_b32_e32 v119, 0x1fffff, v40
                                        ; implicit-def: $vgpr40
	s_delay_alu instid0(VALU_DEP_1) | instskip(SKIP_1) | instid1(VALU_DEP_2)
	v_dual_add_nc_u32 v45, 14, v41 :: v_dual_add_nc_u32 v118, v119, v118
	v_mov_b32_e32 v119, v65
	v_cmpx_ne_u32_e32 0, v45
	s_xor_b32 s7, exec_lo, s7
; %bb.1161:                             ;   in Loop: Header=BB4_979 Depth=2
	s_delay_alu instid0(VALU_DEP_2) | instskip(SKIP_2) | instid1(VALU_DEP_2)
	v_cmp_lt_u64_e32 vcc_lo, 0xffffff, v[118:119]
	v_add_nc_u32_e32 v40, 15, v41
	v_cndmask_b32_e64 v41, 0, 1, vcc_lo
	v_cndmask_b32_e32 v40, v45, v40, vcc_lo
	s_delay_alu instid0(VALU_DEP_2)
	v_lshrrev_b64 v[118:119], v41, v[118:119]
; %bb.1162:                             ;   in Loop: Header=BB4_979 Depth=2
	s_and_not1_saveexec_b32 s7, s7
; %bb.1163:                             ;   in Loop: Header=BB4_979 Depth=2
	s_delay_alu instid0(VALU_DEP_1)
	v_bfe_u32 v40, v118, 23, 1
; %bb.1164:                             ;   in Loop: Header=BB4_979 Depth=2
	s_or_b32 exec_lo, exec_lo, s7
	s_delay_alu instid0(VALU_DEP_2) | instskip(NEXT) | instid1(VALU_DEP_2)
	v_lshrrev_b64 v[118:119], 21, v[118:119]
	v_cmp_gt_i32_e32 vcc_lo, 32, v40
	v_min_i32_e32 v41, 31, v40
	v_cmp_eq_u32_e64 s7, 0, v40
	s_delay_alu instid0(VALU_DEP_2) | instskip(SKIP_1) | instid1(VALU_DEP_2)
	v_dual_cndmask_b32 v119, 0, v119, vcc_lo :: v_dual_lshlrev_b32 v41, 2, v41
	v_cndmask_b32_e32 v118, 3, v118, vcc_lo
	v_and_b32_e32 v41, 0xfc, v41
	s_delay_alu instid0(VALU_DEP_2) | instskip(NEXT) | instid1(VALU_DEP_2)
	v_cmp_eq_u64_e32 vcc_lo, 0, v[118:119]
	v_and_or_b32 v118, v118, 3, v41
	s_and_b32 s7, s7, vcc_lo
	s_delay_alu instid0(VALU_DEP_1) | instid1(SALU_CYCLE_1)
	v_cndmask_b32_e64 v118, v118, 0, s7
	s_delay_alu instid0(VALU_DEP_1)
	v_or_b32_e32 v45, v118, v30
.LBB4_1165:                             ;   in Loop: Header=BB4_979 Depth=2
	s_or_b32 exec_lo, exec_lo, s21
                                        ; implicit-def: $vgpr30
.LBB4_1166:                             ;   in Loop: Header=BB4_979 Depth=2
	s_and_not1_saveexec_b32 s7, s20
; %bb.1167:                             ;   in Loop: Header=BB4_979 Depth=2
	v_or_b32_e32 v45, 0x7b, v30
; %bb.1168:                             ;   in Loop: Header=BB4_979 Depth=2
	s_or_b32 exec_lo, exec_lo, s7
                                        ; implicit-def: $vgpr40
                                        ; implicit-def: $vgpr118_vgpr119
                                        ; implicit-def: $vgpr30
.LBB4_1169:                             ;   in Loop: Header=BB4_979 Depth=2
	s_and_not1_saveexec_b32 s7, s19
	s_cbranch_execz .LBB4_1175
; %bb.1170:                             ;   in Loop: Header=BB4_979 Depth=2
	s_mov_b32 s19, exec_lo
                                        ; implicit-def: $vgpr45
	v_cmpx_ne_u64_e32 0, v[118:119]
	s_xor_b32 s19, exec_lo, s19
; %bb.1171:                             ;   in Loop: Header=BB4_979 Depth=2
	v_or_b32_e32 v45, 0x7f, v30
                                        ; implicit-def: $vgpr40
; %bb.1172:                             ;   in Loop: Header=BB4_979 Depth=2
	s_and_not1_saveexec_b32 s19, s19
; %bb.1173:                             ;   in Loop: Header=BB4_979 Depth=2
	v_cmp_lt_i32_e32 vcc_lo, -1, v40
	v_cndmask_b32_e32 v45, 0xfc, v59, vcc_lo
; %bb.1174:                             ;   in Loop: Header=BB4_979 Depth=2
	s_or_b32 exec_lo, exec_lo, s19
.LBB4_1175:                             ;   in Loop: Header=BB4_979 Depth=2
	s_delay_alu instid0(SALU_CYCLE_1) | instskip(SKIP_2) | instid1(VALU_DEP_1)
	s_or_b32 exec_lo, exec_lo, s7
	v_dual_lshrrev_b32 v30, 16, v64 :: v_dual_mov_b32 v118, 0
	s_mov_b32 s7, exec_lo
	v_and_b32_e32 v119, 0xff, v30
	s_delay_alu instid0(VALU_DEP_1)
	v_cmpx_ne_u16_e32 0, v119
	s_cbranch_execz .LBB4_1185
; %bb.1176:                             ;   in Loop: Header=BB4_979 Depth=2
	v_bfrev_b32_e32 v118, 1
	s_mov_b32 s19, exec_lo
	v_cmpx_ne_u16_e32 0x80, v119
	s_cbranch_execz .LBB4_1184
; %bb.1177:                             ;   in Loop: Header=BB4_979 Depth=2
	v_and_b32_e32 v118, 0x7c0000, v64
	v_bfe_u32 v119, v64, 16, 2
	s_delay_alu instid0(VALU_DEP_2) | instskip(SKIP_1) | instid1(SALU_CYCLE_1)
	v_cmp_ne_u32_e32 vcc_lo, 0x7c0000, v118
                                        ; implicit-def: $vgpr118
	s_and_saveexec_b32 s20, vcc_lo
	s_xor_b32 s20, exec_lo, s20
	s_cbranch_execz .LBB4_1181
; %bb.1178:                             ;   in Loop: Header=BB4_979 Depth=2
	v_bfe_u32 v118, v64, 18, 5
	s_mov_b32 s21, exec_lo
	s_delay_alu instid0(VALU_DEP_1)
	v_cmpx_eq_u32_e32 0, v118
; %bb.1179:                             ;   in Loop: Header=BB4_979 Depth=2
	v_clz_i32_u32_e32 v118, v119
	s_delay_alu instid0(VALU_DEP_1) | instskip(NEXT) | instid1(VALU_DEP_1)
	v_min_u32_e32 v118, 32, v118
	v_subrev_nc_u32_e32 v119, 29, v118
	s_delay_alu instid0(VALU_DEP_1) | instskip(NEXT) | instid1(VALU_DEP_1)
	v_lshlrev_b64_e32 v[40:41], v119, v[30:31]
	v_dual_sub_nc_u32 v118, 30, v118 :: v_dual_bitop2_b32 v119, 3, v40 bitop3:0x40
; %bb.1180:                             ;   in Loop: Header=BB4_979 Depth=2
	s_or_b32 exec_lo, exec_lo, s21
	v_lshlrev_b32_e32 v30, 24, v30
	s_delay_alu instid0(VALU_DEP_1) | instskip(NEXT) | instid1(VALU_DEP_1)
	v_and_b32_e32 v30, 0x80000000, v30
	v_lshl_add_u32 v30, v118, 23, v30
	s_delay_alu instid0(VALU_DEP_1) | instskip(NEXT) | instid1(VALU_DEP_1)
	v_lshl_or_b32 v30, v119, 21, v30
                                        ; implicit-def: $vgpr119
	v_add_nc_u32_e32 v118, 0x38000000, v30
                                        ; implicit-def: $vgpr30
.LBB4_1181:                             ;   in Loop: Header=BB4_979 Depth=2
	s_and_not1_saveexec_b32 s20, s20
; %bb.1182:                             ;   in Loop: Header=BB4_979 Depth=2
	v_bfe_i32 v30, v30, 0, 8
	s_delay_alu instid0(VALU_DEP_1) | instskip(SKIP_2) | instid1(VALU_DEP_2)
	v_cmp_lt_i16_e32 vcc_lo, -1, v30
	v_cndmask_b32_e32 v30, 0xff800000, v21, vcc_lo
	v_cmp_eq_u32_e32 vcc_lo, 0, v119
	v_cndmask_b32_e32 v118, 0x7f800001, v30, vcc_lo
; %bb.1183:                             ;   in Loop: Header=BB4_979 Depth=2
	s_or_b32 exec_lo, exec_lo, s20
.LBB4_1184:                             ;   in Loop: Header=BB4_979 Depth=2
	s_delay_alu instid0(SALU_CYCLE_1)
	s_or_b32 exec_lo, exec_lo, s19
.LBB4_1185:                             ;   in Loop: Header=BB4_979 Depth=2
	s_delay_alu instid0(SALU_CYCLE_1) | instskip(NEXT) | instid1(VALU_DEP_1)
	s_or_b32 exec_lo, exec_lo, s7
	v_dual_mul_f32 v40, v56, v118 :: v_dual_mov_b32 v47, v65
	s_delay_alu instid0(VALU_DEP_1) | instskip(SKIP_2) | instid1(VALU_DEP_2)
	v_dual_mov_b32 v119, v65 :: v_dual_lshrrev_b32 v30, 24, v40
	v_and_b32_e32 v46, 0x7f800000, v40
	v_and_b32_e32 v118, 0x7fffff, v40
	v_cmp_ne_u64_e32 vcc_lo, 0x7f800000, v[46:47]
                                        ; implicit-def: $vgpr46
	s_and_saveexec_b32 s7, vcc_lo
	s_delay_alu instid0(SALU_CYCLE_1)
	s_xor_b32 s19, exec_lo, s7
	s_cbranch_execz .LBB4_1199
; %bb.1186:                             ;   in Loop: Header=BB4_979 Depth=2
	v_and_b32_e32 v46, 0x7fffffff, v40
	v_mov_b32_e32 v47, v65
	v_and_b32_e32 v30, 0x80, v30
	s_delay_alu instid0(VALU_DEP_2) | instskip(SKIP_1) | instid1(SALU_CYCLE_1)
	v_cmp_gt_u64_e32 vcc_lo, 0x47600001, v[46:47]
                                        ; implicit-def: $vgpr46
	s_and_saveexec_b32 s7, vcc_lo
	s_xor_b32 s20, exec_lo, s7
	s_cbranch_execz .LBB4_1196
; %bb.1187:                             ;   in Loop: Header=BB4_979 Depth=2
	v_mov_b32_e32 v46, 0
	s_mov_b32 s21, exec_lo
	v_cmpx_ne_u32_e32 0, v40
	s_cbranch_execz .LBB4_1195
; %bb.1188:                             ;   in Loop: Header=BB4_979 Depth=2
	v_bfe_u32 v46, v40, 23, 8
	v_or_b32_e32 v72, 0x800000, v118
	s_delay_alu instid0(VALU_DEP_2) | instskip(SKIP_1) | instid1(VALU_DEP_2)
	v_sub_nc_u32_e32 v40, 0x71, v46
	v_cmp_gt_u32_e32 vcc_lo, 0x72, v46
	v_cndmask_b32_e32 v40, 0, v40, vcc_lo
	v_cmp_eq_u32_e32 vcc_lo, 0, v46
	s_delay_alu instid0(VALU_DEP_2) | instskip(NEXT) | instid1(VALU_DEP_1)
	v_cndmask_b32_e64 v47, v40, 0x70, vcc_lo
	v_dual_cndmask_b32 v118, v72, v118, vcc_lo :: v_dual_add_nc_u32 v40, 21, v47
	v_add_nc_u32_e32 v73, 20, v47
	s_delay_alu instid0(VALU_DEP_2) | instskip(NEXT) | instid1(VALU_DEP_2)
	v_lshlrev_b64_e64 v[40:41], v40, -1
	v_lshlrev_b64_e64 v[72:73], v73, 1
	s_delay_alu instid0(VALU_DEP_2) | instskip(SKIP_1) | instid1(VALU_DEP_4)
	v_bfi_b32 v40, v40, 0, v118
	v_lshrrev_b64 v[118:119], v47, v[118:119]
	v_bfi_b32 v41, v41, 0, 0
	s_delay_alu instid0(VALU_DEP_1) | instskip(NEXT) | instid1(VALU_DEP_3)
	v_cmp_eq_u64_e64 s7, v[40:41], v[72:73]
	v_mov_b64_e32 v[40:41], v[118:119]
	s_and_saveexec_b32 s22, s7
; %bb.1189:                             ;   in Loop: Header=BB4_979 Depth=2
	v_bfe_u32 v40, v118, 21, 1
	v_mov_b32_e32 v41, v65
	s_delay_alu instid0(VALU_DEP_1) | instskip(NEXT) | instid1(VALU_DEP_1)
	v_add_nc_u64_e32 v[40:41], v[118:119], v[40:41]
	v_add_nc_u64_e32 v[40:41], -1, v[40:41]
; %bb.1190:                             ;   in Loop: Header=BB4_979 Depth=2
	s_or_b32 exec_lo, exec_lo, s22
	v_add_nc_u32_e32 v119, 0xffffff81, v46
	v_lshrrev_b32_e32 v41, 23, v118
	s_mov_b32 s7, exec_lo
	s_delay_alu instid0(VALU_DEP_2) | instskip(NEXT) | instid1(VALU_DEP_1)
	v_cndmask_b32_e64 v119, v119, 0xffffff82, vcc_lo
	v_add3_u32 v41, v47, v119, v41
	v_and_b32_e32 v119, 0x1fffff, v40
                                        ; implicit-def: $vgpr40
	s_delay_alu instid0(VALU_DEP_1) | instskip(SKIP_1) | instid1(VALU_DEP_2)
	v_dual_add_nc_u32 v46, 14, v41 :: v_dual_add_nc_u32 v118, v119, v118
	v_mov_b32_e32 v119, v65
	v_cmpx_ne_u32_e32 0, v46
	s_xor_b32 s7, exec_lo, s7
; %bb.1191:                             ;   in Loop: Header=BB4_979 Depth=2
	s_delay_alu instid0(VALU_DEP_2) | instskip(SKIP_2) | instid1(VALU_DEP_2)
	v_cmp_lt_u64_e32 vcc_lo, 0xffffff, v[118:119]
	v_add_nc_u32_e32 v40, 15, v41
	v_cndmask_b32_e64 v41, 0, 1, vcc_lo
	v_cndmask_b32_e32 v40, v46, v40, vcc_lo
	s_delay_alu instid0(VALU_DEP_2)
	v_lshrrev_b64 v[118:119], v41, v[118:119]
; %bb.1192:                             ;   in Loop: Header=BB4_979 Depth=2
	s_and_not1_saveexec_b32 s7, s7
; %bb.1193:                             ;   in Loop: Header=BB4_979 Depth=2
	s_delay_alu instid0(VALU_DEP_1)
	v_bfe_u32 v40, v118, 23, 1
; %bb.1194:                             ;   in Loop: Header=BB4_979 Depth=2
	s_or_b32 exec_lo, exec_lo, s7
	s_delay_alu instid0(VALU_DEP_2) | instskip(NEXT) | instid1(VALU_DEP_2)
	v_lshrrev_b64 v[118:119], 21, v[118:119]
	v_cmp_gt_i32_e32 vcc_lo, 32, v40
	v_min_i32_e32 v41, 31, v40
	v_cmp_eq_u32_e64 s7, 0, v40
	s_delay_alu instid0(VALU_DEP_2) | instskip(SKIP_1) | instid1(VALU_DEP_2)
	v_dual_cndmask_b32 v119, 0, v119, vcc_lo :: v_dual_lshlrev_b32 v41, 2, v41
	v_cndmask_b32_e32 v118, 3, v118, vcc_lo
	v_and_b32_e32 v41, 0xfc, v41
	s_delay_alu instid0(VALU_DEP_2) | instskip(NEXT) | instid1(VALU_DEP_2)
	v_cmp_eq_u64_e32 vcc_lo, 0, v[118:119]
	v_and_or_b32 v118, v118, 3, v41
	s_and_b32 s7, s7, vcc_lo
	s_delay_alu instid0(VALU_DEP_1) | instid1(SALU_CYCLE_1)
	v_cndmask_b32_e64 v118, v118, 0, s7
	s_delay_alu instid0(VALU_DEP_1)
	v_or_b32_e32 v46, v118, v30
.LBB4_1195:                             ;   in Loop: Header=BB4_979 Depth=2
	s_or_b32 exec_lo, exec_lo, s21
                                        ; implicit-def: $vgpr30
.LBB4_1196:                             ;   in Loop: Header=BB4_979 Depth=2
	s_and_not1_saveexec_b32 s7, s20
; %bb.1197:                             ;   in Loop: Header=BB4_979 Depth=2
	v_or_b32_e32 v46, 0x7b, v30
; %bb.1198:                             ;   in Loop: Header=BB4_979 Depth=2
	s_or_b32 exec_lo, exec_lo, s7
                                        ; implicit-def: $vgpr40
                                        ; implicit-def: $vgpr118_vgpr119
                                        ; implicit-def: $vgpr30
.LBB4_1199:                             ;   in Loop: Header=BB4_979 Depth=2
	s_and_not1_saveexec_b32 s7, s19
	s_cbranch_execz .LBB4_1205
; %bb.1200:                             ;   in Loop: Header=BB4_979 Depth=2
	s_mov_b32 s19, exec_lo
                                        ; implicit-def: $vgpr46
	v_cmpx_ne_u64_e32 0, v[118:119]
	s_xor_b32 s19, exec_lo, s19
; %bb.1201:                             ;   in Loop: Header=BB4_979 Depth=2
	v_or_b32_e32 v46, 0x7f, v30
                                        ; implicit-def: $vgpr40
; %bb.1202:                             ;   in Loop: Header=BB4_979 Depth=2
	s_and_not1_saveexec_b32 s19, s19
; %bb.1203:                             ;   in Loop: Header=BB4_979 Depth=2
	v_cmp_lt_i32_e32 vcc_lo, -1, v40
	v_cndmask_b32_e32 v46, 0xfc, v59, vcc_lo
; %bb.1204:                             ;   in Loop: Header=BB4_979 Depth=2
	s_or_b32 exec_lo, exec_lo, s19
.LBB4_1205:                             ;   in Loop: Header=BB4_979 Depth=2
	s_delay_alu instid0(SALU_CYCLE_1)
	s_or_b32 exec_lo, exec_lo, s7
	v_mov_b32_e32 v118, 0
	s_mov_b32 s7, exec_lo
	v_cmpx_lt_u32_e32 0xffffff, v64
	s_cbranch_execz .LBB4_1215
; %bb.1206:                             ;   in Loop: Header=BB4_979 Depth=2
	v_lshrrev_b32_e32 v30, 24, v64
	v_bfrev_b32_e32 v118, 1
	s_mov_b32 s19, exec_lo
	s_delay_alu instid0(VALU_DEP_2)
	v_cmpx_ne_u32_e32 0x80, v30
	s_cbranch_execz .LBB4_1214
; %bb.1207:                             ;   in Loop: Header=BB4_979 Depth=2
	v_and_b32_e32 v118, 0x7c000000, v64
	v_bfe_u32 v119, v64, 24, 2
	s_delay_alu instid0(VALU_DEP_2) | instskip(SKIP_1) | instid1(SALU_CYCLE_1)
	v_cmp_ne_u32_e32 vcc_lo, 0x7c000000, v118
                                        ; implicit-def: $vgpr118
	s_and_saveexec_b32 s20, vcc_lo
	s_xor_b32 s20, exec_lo, s20
	s_cbranch_execz .LBB4_1211
; %bb.1208:                             ;   in Loop: Header=BB4_979 Depth=2
	v_bfe_u32 v118, v64, 26, 5
	s_mov_b32 s21, exec_lo
	s_delay_alu instid0(VALU_DEP_1)
	v_cmpx_eq_u32_e32 0, v118
; %bb.1209:                             ;   in Loop: Header=BB4_979 Depth=2
	v_clz_i32_u32_e32 v118, v119
	s_delay_alu instid0(VALU_DEP_1) | instskip(NEXT) | instid1(VALU_DEP_1)
	v_min_u32_e32 v118, 32, v118
	v_subrev_nc_u32_e32 v119, 29, v118
	s_delay_alu instid0(VALU_DEP_1) | instskip(NEXT) | instid1(VALU_DEP_1)
	v_lshlrev_b64_e32 v[40:41], v119, v[30:31]
	v_dual_sub_nc_u32 v118, 30, v118 :: v_dual_bitop2_b32 v119, 3, v40 bitop3:0x40
; %bb.1210:                             ;   in Loop: Header=BB4_979 Depth=2
	s_or_b32 exec_lo, exec_lo, s21
	v_and_b32_e32 v30, 0x80000000, v64
	s_delay_alu instid0(VALU_DEP_1) | instskip(NEXT) | instid1(VALU_DEP_1)
	v_lshl_add_u32 v30, v118, 23, v30
	v_lshl_or_b32 v30, v119, 21, v30
                                        ; implicit-def: $vgpr119
	s_delay_alu instid0(VALU_DEP_1)
	v_add_nc_u32_e32 v118, 0x38000000, v30
.LBB4_1211:                             ;   in Loop: Header=BB4_979 Depth=2
	s_and_not1_saveexec_b32 s20, s20
; %bb.1212:                             ;   in Loop: Header=BB4_979 Depth=2
	v_cmp_lt_i32_e32 vcc_lo, -1, v64
	v_cndmask_b32_e32 v30, 0xff800000, v21, vcc_lo
	v_cmp_eq_u32_e32 vcc_lo, 0, v119
	s_delay_alu instid0(VALU_DEP_2)
	v_cndmask_b32_e32 v118, 0x7f800001, v30, vcc_lo
; %bb.1213:                             ;   in Loop: Header=BB4_979 Depth=2
	s_or_b32 exec_lo, exec_lo, s20
.LBB4_1214:                             ;   in Loop: Header=BB4_979 Depth=2
	s_delay_alu instid0(SALU_CYCLE_1)
	s_or_b32 exec_lo, exec_lo, s19
.LBB4_1215:                             ;   in Loop: Header=BB4_979 Depth=2
	s_delay_alu instid0(SALU_CYCLE_1) | instskip(NEXT) | instid1(VALU_DEP_1)
	s_or_b32 exec_lo, exec_lo, s7
	v_dual_mul_f32 v118, v56, v118 :: v_dual_mov_b32 v41, v65
                                        ; implicit-def: $vgpr47
	s_mov_b32 s7, exec_lo
	s_delay_alu instid0(VALU_DEP_1) | instskip(SKIP_2) | instid1(VALU_DEP_3)
	v_and_b32_e32 v40, 0x7f800000, v118
	v_and_b32_e32 v64, 0x7fffff, v118
	v_lshrrev_b32_e32 v30, 24, v118
	v_cmpx_ne_u64_e32 0x7f800000, v[40:41]
	s_xor_b32 s19, exec_lo, s7
	s_cbranch_execz .LBB4_1229
; %bb.1216:                             ;   in Loop: Header=BB4_979 Depth=2
	v_and_b32_e32 v40, 0x7fffffff, v118
	v_mov_b32_e32 v41, v65
	v_and_b32_e32 v30, 0x80, v30
                                        ; implicit-def: $vgpr47
	s_mov_b32 s7, exec_lo
	s_delay_alu instid0(VALU_DEP_2)
	v_cmpx_gt_u64_e32 0x47600001, v[40:41]
	s_xor_b32 s20, exec_lo, s7
	s_cbranch_execz .LBB4_1226
; %bb.1217:                             ;   in Loop: Header=BB4_979 Depth=2
	v_mov_b32_e32 v47, 0
	s_mov_b32 s21, exec_lo
	v_cmpx_ne_u32_e32 0, v118
	s_cbranch_execz .LBB4_1225
; %bb.1218:                             ;   in Loop: Header=BB4_979 Depth=2
	v_bfe_u32 v47, v118, 23, 8
	v_or_b32_e32 v40, 0x800000, v64
	s_delay_alu instid0(VALU_DEP_2) | instskip(SKIP_1) | instid1(VALU_DEP_2)
	v_sub_nc_u32_e32 v118, 0x71, v47
	v_cmp_gt_u32_e32 vcc_lo, 0x72, v47
	v_cndmask_b32_e32 v118, 0, v118, vcc_lo
	v_cmp_eq_u32_e32 vcc_lo, 0, v47
	s_delay_alu instid0(VALU_DEP_2) | instskip(SKIP_1) | instid1(VALU_DEP_2)
	v_cndmask_b32_e64 v72, v118, 0x70, vcc_lo
	v_cndmask_b32_e32 v64, v40, v64, vcc_lo
	v_dual_add_nc_u32 v118, 21, v72 :: v_dual_add_nc_u32 v41, 20, v72
	s_delay_alu instid0(VALU_DEP_1) | instskip(NEXT) | instid1(VALU_DEP_2)
	v_lshlrev_b64_e64 v[118:119], v118, -1
	v_lshlrev_b64_e64 v[40:41], v41, 1
	s_delay_alu instid0(VALU_DEP_2) | instskip(NEXT) | instid1(VALU_DEP_3)
	v_bfi_b32 v75, v119, 0, 0
	v_bfi_b32 v74, v118, 0, v64
	v_lshrrev_b64 v[118:119], v72, v[64:65]
	s_delay_alu instid0(VALU_DEP_2) | instskip(NEXT) | instid1(VALU_DEP_2)
	v_cmp_eq_u64_e64 s7, v[74:75], v[40:41]
	v_mov_b64_e32 v[40:41], v[118:119]
	s_and_saveexec_b32 s22, s7
; %bb.1219:                             ;   in Loop: Header=BB4_979 Depth=2
	v_bfe_u32 v64, v118, 21, 1
	s_delay_alu instid0(VALU_DEP_1) | instskip(NEXT) | instid1(VALU_DEP_1)
	v_add_nc_u64_e32 v[40:41], v[118:119], v[64:65]
	v_add_nc_u64_e32 v[40:41], -1, v[40:41]
; %bb.1220:                             ;   in Loop: Header=BB4_979 Depth=2
	s_or_b32 exec_lo, exec_lo, s22
	v_add_nc_u32_e32 v64, 0xffffff81, v47
	v_lshrrev_b32_e32 v119, 23, v118
	s_mov_b32 s7, exec_lo
	s_delay_alu instid0(VALU_DEP_2) | instskip(NEXT) | instid1(VALU_DEP_1)
	v_cndmask_b32_e64 v64, v64, 0xffffff82, vcc_lo
	v_add3_u32 v41, v72, v64, v119
	v_and_b32_e32 v64, 0x1fffff, v40
                                        ; implicit-def: $vgpr40
	s_delay_alu instid0(VALU_DEP_1) | instskip(NEXT) | instid1(VALU_DEP_1)
	v_dual_add_nc_u32 v47, 14, v41 :: v_dual_add_nc_u32 v64, v64, v118
                                        ; implicit-def: $vgpr118_vgpr119
	v_cmpx_ne_u32_e32 0, v47
	s_xor_b32 s7, exec_lo, s7
; %bb.1221:                             ;   in Loop: Header=BB4_979 Depth=2
	s_delay_alu instid0(VALU_DEP_2) | instskip(SKIP_1) | instid1(VALU_DEP_1)
	v_cmp_lt_u64_e32 vcc_lo, 0xffffff, v[64:65]
	v_add_nc_u32_e32 v118, 15, v41
	v_cndmask_b32_e32 v40, v47, v118, vcc_lo
	v_cndmask_b32_e64 v118, 0, 1, vcc_lo
	s_delay_alu instid0(VALU_DEP_1)
	v_lshrrev_b64 v[118:119], v118, v[64:65]
; %bb.1222:                             ;   in Loop: Header=BB4_979 Depth=2
	s_and_not1_saveexec_b32 s7, s7
; %bb.1223:                             ;   in Loop: Header=BB4_979 Depth=2
	v_mov_b64_e32 v[118:119], v[64:65]
	v_bfe_u32 v40, v64, 23, 1
; %bb.1224:                             ;   in Loop: Header=BB4_979 Depth=2
	s_or_b32 exec_lo, exec_lo, s7
	s_delay_alu instid0(VALU_DEP_2) | instskip(NEXT) | instid1(VALU_DEP_2)
	v_lshrrev_b64 v[118:119], 21, v[118:119]
	v_cmp_gt_i32_e32 vcc_lo, 32, v40
	v_min_i32_e32 v64, 31, v40
	v_cmp_eq_u32_e64 s7, 0, v40
	s_delay_alu instid0(VALU_DEP_2) | instskip(SKIP_1) | instid1(VALU_DEP_2)
	v_dual_cndmask_b32 v119, 0, v119 :: v_dual_lshlrev_b32 v64, 2, v64
	v_cndmask_b32_e32 v118, 3, v118, vcc_lo
	v_and_b32_e32 v64, 0xfc, v64
	s_delay_alu instid0(VALU_DEP_2) | instskip(NEXT) | instid1(VALU_DEP_2)
	v_cmp_eq_u64_e32 vcc_lo, 0, v[118:119]
	v_and_or_b32 v64, v118, 3, v64
	s_and_b32 s7, s7, vcc_lo
	s_delay_alu instid0(VALU_DEP_1) | instid1(SALU_CYCLE_1)
	v_cndmask_b32_e64 v64, v64, 0, s7
	s_delay_alu instid0(VALU_DEP_1)
	v_or_b32_e32 v47, v64, v30
.LBB4_1225:                             ;   in Loop: Header=BB4_979 Depth=2
	s_or_b32 exec_lo, exec_lo, s21
                                        ; implicit-def: $vgpr30
.LBB4_1226:                             ;   in Loop: Header=BB4_979 Depth=2
	s_and_not1_saveexec_b32 s7, s20
; %bb.1227:                             ;   in Loop: Header=BB4_979 Depth=2
	v_or_b32_e32 v47, 0x7b, v30
; %bb.1228:                             ;   in Loop: Header=BB4_979 Depth=2
	s_or_b32 exec_lo, exec_lo, s7
                                        ; implicit-def: $vgpr118
                                        ; implicit-def: $vgpr30
.LBB4_1229:                             ;   in Loop: Header=BB4_979 Depth=2
	s_and_not1_saveexec_b32 s7, s19
	s_cbranch_execz .LBB4_1235
; %bb.1230:                             ;   in Loop: Header=BB4_979 Depth=2
	s_mov_b32 s19, exec_lo
                                        ; implicit-def: $vgpr47
	v_cmpx_ne_u64_e32 0, v[64:65]
	s_xor_b32 s19, exec_lo, s19
; %bb.1231:                             ;   in Loop: Header=BB4_979 Depth=2
	v_or_b32_e32 v47, 0x7f, v30
                                        ; implicit-def: $vgpr118
; %bb.1232:                             ;   in Loop: Header=BB4_979 Depth=2
	s_and_not1_saveexec_b32 s19, s19
; %bb.1233:                             ;   in Loop: Header=BB4_979 Depth=2
	v_cmp_lt_i32_e32 vcc_lo, -1, v118
	v_cndmask_b32_e32 v47, 0xfc, v59, vcc_lo
; %bb.1234:                             ;   in Loop: Header=BB4_979 Depth=2
	s_or_b32 exec_lo, exec_lo, s19
.LBB4_1235:                             ;   in Loop: Header=BB4_979 Depth=2
	s_delay_alu instid0(SALU_CYCLE_1) | instskip(SKIP_4) | instid1(VALU_DEP_2)
	s_or_b32 exec_lo, exec_lo, s7
	s_wait_loadcnt 0x0
	v_and_b32_e32 v64, 0xff, v2
	v_dual_mov_b32 v30, 0 :: v_dual_mov_b32 v118, 0
	s_mov_b32 s7, exec_lo
	v_cmpx_ne_u16_e32 0, v64
	s_cbranch_execz .LBB4_1245
; %bb.1236:                             ;   in Loop: Header=BB4_979 Depth=2
	v_bfe_i32 v119, v2, 0, 8
	v_bfrev_b32_e32 v118, 1
	s_mov_b32 s19, exec_lo
	s_delay_alu instid0(VALU_DEP_2)
	v_cmpx_ne_u16_e32 0xff80, v119
	s_cbranch_execz .LBB4_1244
; %bb.1237:                             ;   in Loop: Header=BB4_979 Depth=2
	v_and_b32_e32 v118, 0x7c, v2
	v_and_b32_e32 v64, 3, v2
	s_delay_alu instid0(VALU_DEP_2) | instskip(SKIP_1) | instid1(SALU_CYCLE_1)
	v_cmp_ne_u32_e32 vcc_lo, 0x7c, v118
                                        ; implicit-def: $vgpr118
	s_and_saveexec_b32 s20, vcc_lo
	s_xor_b32 s20, exec_lo, s20
	s_cbranch_execz .LBB4_1241
; %bb.1238:                             ;   in Loop: Header=BB4_979 Depth=2
	v_bfe_u32 v118, v2, 2, 5
	s_mov_b32 s21, exec_lo
	s_delay_alu instid0(VALU_DEP_1)
	v_cmpx_eq_u32_e32 0, v118
; %bb.1239:                             ;   in Loop: Header=BB4_979 Depth=2
	v_clz_i32_u32_e32 v64, v64
	s_delay_alu instid0(VALU_DEP_1) | instskip(NEXT) | instid1(VALU_DEP_1)
	v_min_u32_e32 v64, 32, v64
	v_subrev_nc_u32_e32 v118, 29, v64
	s_delay_alu instid0(VALU_DEP_1) | instskip(SKIP_1) | instid1(VALU_DEP_2)
	v_lshlrev_b64_e32 v[40:41], v118, v[2:3]
	v_sub_nc_u32_e32 v118, 30, v64
	v_and_b32_e32 v64, 3, v40
; %bb.1240:                             ;   in Loop: Header=BB4_979 Depth=2
	s_or_b32 exec_lo, exec_lo, s21
	v_lshlrev_b32_e32 v3, 24, v2
                                        ; implicit-def: $vgpr119
	s_delay_alu instid0(VALU_DEP_1) | instskip(NEXT) | instid1(VALU_DEP_1)
	v_and_b32_e32 v3, 0x80000000, v3
	v_lshl_add_u32 v3, v118, 23, v3
	s_delay_alu instid0(VALU_DEP_1) | instskip(NEXT) | instid1(VALU_DEP_1)
	v_lshl_or_b32 v3, v64, 21, v3
                                        ; implicit-def: $vgpr64
	v_add_nc_u32_e32 v118, 0x38000000, v3
.LBB4_1241:                             ;   in Loop: Header=BB4_979 Depth=2
	s_and_not1_saveexec_b32 s20, s20
; %bb.1242:                             ;   in Loop: Header=BB4_979 Depth=2
	v_cmp_lt_i16_e32 vcc_lo, -1, v119
	v_cndmask_b32_e32 v3, 0xff800000, v21, vcc_lo
	v_cmp_eq_u32_e32 vcc_lo, 0, v64
	s_delay_alu instid0(VALU_DEP_2)
	v_cndmask_b32_e32 v118, 0x7f800001, v3, vcc_lo
; %bb.1243:                             ;   in Loop: Header=BB4_979 Depth=2
	s_or_b32 exec_lo, exec_lo, s20
.LBB4_1244:                             ;   in Loop: Header=BB4_979 Depth=2
	s_delay_alu instid0(SALU_CYCLE_1)
	s_or_b32 exec_lo, exec_lo, s19
.LBB4_1245:                             ;   in Loop: Header=BB4_979 Depth=2
	s_delay_alu instid0(SALU_CYCLE_1) | instskip(SKIP_3) | instid1(VALU_DEP_1)
	s_or_b32 exec_lo, exec_lo, s7
	v_lshl_or_b32 v3, v44, 8, v117
	v_dual_lshlrev_b32 v64, 16, v62 :: v_dual_lshlrev_b32 v119, 24, v63
	s_mov_b32 s7, exec_lo
	v_or3_b32 v64, v64, v119, v3
	v_cmpx_ne_u32_e32 0, v117
	s_cbranch_execz .LBB4_1255
; %bb.1246:                             ;   in Loop: Header=BB4_979 Depth=2
	v_bfrev_b32_e32 v30, 1
	s_mov_b32 s19, exec_lo
	v_cmpx_ne_u32_e32 0x80, v117
	s_cbranch_execz .LBB4_1254
; %bb.1247:                             ;   in Loop: Header=BB4_979 Depth=2
	v_and_b32_e32 v30, 0x7c, v117
	v_and_b32_e32 v119, 3, v117
	s_delay_alu instid0(VALU_DEP_2) | instskip(SKIP_1) | instid1(SALU_CYCLE_1)
	v_cmp_ne_u32_e32 vcc_lo, 0x7c, v30
                                        ; implicit-def: $vgpr30
	s_and_saveexec_b32 s20, vcc_lo
	s_xor_b32 s20, exec_lo, s20
	s_cbranch_execz .LBB4_1251
; %bb.1248:                             ;   in Loop: Header=BB4_979 Depth=2
	v_bfe_u32 v30, v117, 2, 5
	s_mov_b32 s21, exec_lo
	s_delay_alu instid0(VALU_DEP_1)
	v_cmpx_eq_u32_e32 0, v30
; %bb.1249:                             ;   in Loop: Header=BB4_979 Depth=2
	v_clz_i32_u32_e32 v30, v119
	s_delay_alu instid0(VALU_DEP_1) | instskip(NEXT) | instid1(VALU_DEP_1)
	v_min_u32_e32 v30, 32, v30
	v_subrev_nc_u32_e32 v119, 29, v30
	s_delay_alu instid0(VALU_DEP_1) | instskip(NEXT) | instid1(VALU_DEP_1)
	v_lshlrev_b64_e32 v[40:41], v119, v[64:65]
	v_dual_sub_nc_u32 v30, 30, v30 :: v_dual_bitop2_b32 v119, 3, v40 bitop3:0x40
; %bb.1250:                             ;   in Loop: Header=BB4_979 Depth=2
	s_or_b32 exec_lo, exec_lo, s21
	v_lshlrev_b32_e32 v117, 24, v117
	s_delay_alu instid0(VALU_DEP_1) | instskip(NEXT) | instid1(VALU_DEP_1)
	v_and_b32_e32 v117, 0x80000000, v117
	v_lshl_add_u32 v30, v30, 23, v117
                                        ; implicit-def: $vgpr117
	s_delay_alu instid0(VALU_DEP_1) | instskip(NEXT) | instid1(VALU_DEP_1)
	v_lshl_or_b32 v30, v119, 21, v30
                                        ; implicit-def: $vgpr119
	v_add_nc_u32_e32 v30, 0x38000000, v30
.LBB4_1251:                             ;   in Loop: Header=BB4_979 Depth=2
	s_and_not1_saveexec_b32 s20, s20
; %bb.1252:                             ;   in Loop: Header=BB4_979 Depth=2
	v_and_b32_e32 v30, 0x80, v117
	s_delay_alu instid0(VALU_DEP_1) | instskip(SKIP_2) | instid1(VALU_DEP_2)
	v_cmp_eq_u32_e32 vcc_lo, 0, v30
	v_cndmask_b32_e32 v30, 0xff800000, v21, vcc_lo
	v_cmp_eq_u32_e32 vcc_lo, 0, v119
	v_cndmask_b32_e32 v30, 0x7f800001, v30, vcc_lo
; %bb.1253:                             ;   in Loop: Header=BB4_979 Depth=2
	s_or_b32 exec_lo, exec_lo, s20
.LBB4_1254:                             ;   in Loop: Header=BB4_979 Depth=2
	s_delay_alu instid0(SALU_CYCLE_1)
	s_or_b32 exec_lo, exec_lo, s19
.LBB4_1255:                             ;   in Loop: Header=BB4_979 Depth=2
	s_delay_alu instid0(SALU_CYCLE_1) | instskip(NEXT) | instid1(VALU_DEP_1)
	s_or_b32 exec_lo, exec_lo, s7
	v_dual_add_f32 v40, v118, v30 :: v_dual_mov_b32 v63, v65
	v_mov_b32_e32 v119, v65
                                        ; implicit-def: $vgpr117
	s_mov_b32 s7, exec_lo
	s_delay_alu instid0(VALU_DEP_2) | instskip(SKIP_2) | instid1(VALU_DEP_3)
	v_and_b32_e32 v62, 0x7f800000, v40
	v_and_b32_e32 v118, 0x7fffff, v40
	v_lshrrev_b32_e32 v30, 24, v40
	v_cmpx_ne_u64_e32 0x7f800000, v[62:63]
	s_xor_b32 s19, exec_lo, s7
	s_cbranch_execz .LBB4_1269
; %bb.1256:                             ;   in Loop: Header=BB4_979 Depth=2
	v_and_b32_e32 v62, 0x7fffffff, v40
	v_mov_b32_e32 v63, v65
	v_and_b32_e32 v30, 0x80, v30
                                        ; implicit-def: $vgpr117
	s_mov_b32 s7, exec_lo
	s_delay_alu instid0(VALU_DEP_2)
	v_cmpx_gt_u64_e32 0x47600001, v[62:63]
	s_xor_b32 s20, exec_lo, s7
	s_cbranch_execz .LBB4_1266
; %bb.1257:                             ;   in Loop: Header=BB4_979 Depth=2
	v_mov_b32_e32 v117, 0
	s_mov_b32 s21, exec_lo
	v_cmpx_ne_u32_e32 0, v40
	s_cbranch_execz .LBB4_1265
; %bb.1258:                             ;   in Loop: Header=BB4_979 Depth=2
	v_bfe_u32 v117, v40, 23, 8
	v_or_b32_e32 v62, 0x800000, v118
	s_delay_alu instid0(VALU_DEP_2) | instskip(SKIP_1) | instid1(VALU_DEP_2)
	v_sub_nc_u32_e32 v40, 0x71, v117
	v_cmp_gt_u32_e32 vcc_lo, 0x72, v117
	v_cndmask_b32_e32 v40, 0, v40, vcc_lo
	v_cmp_eq_u32_e32 vcc_lo, 0, v117
	v_cndmask_b32_e32 v118, v62, v118, vcc_lo
	s_delay_alu instid0(VALU_DEP_3) | instskip(NEXT) | instid1(VALU_DEP_1)
	v_cndmask_b32_e64 v44, v40, 0x70, vcc_lo
	v_dual_add_nc_u32 v40, 21, v44 :: v_dual_add_nc_u32 v63, 20, v44
	s_delay_alu instid0(VALU_DEP_1) | instskip(NEXT) | instid1(VALU_DEP_2)
	v_lshlrev_b64_e64 v[40:41], v40, -1
	v_lshlrev_b64_e64 v[62:63], v63, 1
	s_delay_alu instid0(VALU_DEP_2) | instskip(SKIP_1) | instid1(VALU_DEP_4)
	v_bfi_b32 v40, v40, 0, v118
	v_lshrrev_b64 v[118:119], v44, v[118:119]
	v_bfi_b32 v41, v41, 0, 0
	s_delay_alu instid0(VALU_DEP_1) | instskip(NEXT) | instid1(VALU_DEP_3)
	v_cmp_eq_u64_e64 s7, v[40:41], v[62:63]
	v_mov_b64_e32 v[40:41], v[118:119]
	s_and_saveexec_b32 s22, s7
; %bb.1259:                             ;   in Loop: Header=BB4_979 Depth=2
	v_bfe_u32 v40, v118, 21, 1
	v_mov_b32_e32 v41, v65
	s_delay_alu instid0(VALU_DEP_1) | instskip(NEXT) | instid1(VALU_DEP_1)
	v_add_nc_u64_e32 v[40:41], v[118:119], v[40:41]
	v_add_nc_u64_e32 v[40:41], -1, v[40:41]
; %bb.1260:                             ;   in Loop: Header=BB4_979 Depth=2
	s_or_b32 exec_lo, exec_lo, s22
	v_add_nc_u32_e32 v117, 0xffffff81, v117
	v_lshrrev_b32_e32 v119, 23, v118
	s_mov_b32 s7, exec_lo
	s_delay_alu instid0(VALU_DEP_2) | instskip(NEXT) | instid1(VALU_DEP_1)
	v_cndmask_b32_e64 v117, v117, 0xffffff82, vcc_lo
	v_add3_u32 v41, v44, v117, v119
	v_and_b32_e32 v117, 0x1fffff, v40
	s_delay_alu instid0(VALU_DEP_2) | instskip(NEXT) | instid1(VALU_DEP_2)
	v_dual_mov_b32 v119, v65 :: v_dual_add_nc_u32 v40, 14, v41
	v_add_nc_u32_e32 v118, v117, v118
                                        ; implicit-def: $vgpr117
	s_delay_alu instid0(VALU_DEP_2)
	v_cmpx_ne_u32_e32 0, v40
	s_xor_b32 s7, exec_lo, s7
; %bb.1261:                             ;   in Loop: Header=BB4_979 Depth=2
	s_delay_alu instid0(VALU_DEP_2) | instskip(SKIP_1) | instid1(VALU_DEP_1)
	v_cmp_lt_u64_e32 vcc_lo, 0xffffff, v[118:119]
	v_add_nc_u32_e32 v117, 15, v41
	v_cndmask_b32_e32 v117, v40, v117, vcc_lo
	v_cndmask_b32_e64 v40, 0, 1, vcc_lo
	s_delay_alu instid0(VALU_DEP_1)
	v_lshrrev_b64 v[118:119], v40, v[118:119]
; %bb.1262:                             ;   in Loop: Header=BB4_979 Depth=2
	s_and_not1_saveexec_b32 s7, s7
; %bb.1263:                             ;   in Loop: Header=BB4_979 Depth=2
	s_delay_alu instid0(VALU_DEP_1)
	v_bfe_u32 v117, v118, 23, 1
; %bb.1264:                             ;   in Loop: Header=BB4_979 Depth=2
	s_or_b32 exec_lo, exec_lo, s7
	s_delay_alu instid0(VALU_DEP_2) | instskip(NEXT) | instid1(VALU_DEP_2)
	v_lshrrev_b64 v[118:119], 21, v[118:119]
	v_cmp_gt_i32_e32 vcc_lo, 32, v117
	v_min_i32_e32 v40, 31, v117
	v_cmp_eq_u32_e64 s7, 0, v117
	s_delay_alu instid0(VALU_DEP_2) | instskip(SKIP_1) | instid1(VALU_DEP_2)
	v_dual_cndmask_b32 v119, 0, v119 :: v_dual_lshlrev_b32 v40, 2, v40
	v_cndmask_b32_e32 v118, 3, v118, vcc_lo
	v_and_b32_e32 v40, 0xfc, v40
	s_delay_alu instid0(VALU_DEP_2) | instskip(NEXT) | instid1(VALU_DEP_2)
	v_cmp_eq_u64_e32 vcc_lo, 0, v[118:119]
	v_and_or_b32 v117, v118, 3, v40
	s_and_b32 s7, s7, vcc_lo
	s_delay_alu instid0(VALU_DEP_1) | instid1(SALU_CYCLE_1)
	v_cndmask_b32_e64 v117, v117, 0, s7
	s_delay_alu instid0(VALU_DEP_1)
	v_or_b32_e32 v117, v117, v30
.LBB4_1265:                             ;   in Loop: Header=BB4_979 Depth=2
	s_or_b32 exec_lo, exec_lo, s21
                                        ; implicit-def: $vgpr30
.LBB4_1266:                             ;   in Loop: Header=BB4_979 Depth=2
	s_and_not1_saveexec_b32 s7, s20
; %bb.1267:                             ;   in Loop: Header=BB4_979 Depth=2
	v_or_b32_e32 v117, 0x7b, v30
; %bb.1268:                             ;   in Loop: Header=BB4_979 Depth=2
	s_or_b32 exec_lo, exec_lo, s7
                                        ; implicit-def: $vgpr40
                                        ; implicit-def: $vgpr118_vgpr119
                                        ; implicit-def: $vgpr30
.LBB4_1269:                             ;   in Loop: Header=BB4_979 Depth=2
	s_and_not1_saveexec_b32 s7, s19
	s_cbranch_execz .LBB4_1275
; %bb.1270:                             ;   in Loop: Header=BB4_979 Depth=2
	s_mov_b32 s19, exec_lo
                                        ; implicit-def: $vgpr117
	v_cmpx_ne_u64_e32 0, v[118:119]
	s_xor_b32 s19, exec_lo, s19
; %bb.1271:                             ;   in Loop: Header=BB4_979 Depth=2
	v_or_b32_e32 v117, 0x7f, v30
                                        ; implicit-def: $vgpr40
; %bb.1272:                             ;   in Loop: Header=BB4_979 Depth=2
	s_and_not1_saveexec_b32 s19, s19
; %bb.1273:                             ;   in Loop: Header=BB4_979 Depth=2
	v_cmp_lt_i32_e32 vcc_lo, -1, v40
	v_cndmask_b32_e32 v117, 0xfc, v59, vcc_lo
; %bb.1274:                             ;   in Loop: Header=BB4_979 Depth=2
	s_or_b32 exec_lo, exec_lo, s19
.LBB4_1275:                             ;   in Loop: Header=BB4_979 Depth=2
	s_delay_alu instid0(SALU_CYCLE_1) | instskip(SKIP_3) | instid1(VALU_DEP_2)
	s_or_b32 exec_lo, exec_lo, s7
	v_lshrrev_b16 v118, 8, v2
	v_dual_mov_b32 v30, 0 :: v_dual_mov_b32 v40, 0
	s_mov_b32 s7, exec_lo
	v_cmpx_ne_u16_e32 0, v118
	s_cbranch_execz .LBB4_1285
; %bb.1276:                             ;   in Loop: Header=BB4_979 Depth=2
	v_bfrev_b32_e32 v40, 1
	s_mov_b32 s19, exec_lo
	v_cmpx_ne_u16_e32 0x80, v118
	s_cbranch_execz .LBB4_1284
; %bb.1277:                             ;   in Loop: Header=BB4_979 Depth=2
	v_and_b32_e32 v41, 0xffff, v118
	s_delay_alu instid0(VALU_DEP_1) | instskip(SKIP_1) | instid1(VALU_DEP_2)
	v_and_b32_e32 v40, 0x7c, v41
	v_and_b32_e32 v119, 3, v41
	v_cmp_ne_u32_e32 vcc_lo, 0x7c, v40
                                        ; implicit-def: $vgpr40
	s_and_saveexec_b32 s20, vcc_lo
	s_delay_alu instid0(SALU_CYCLE_1)
	s_xor_b32 s20, exec_lo, s20
	s_cbranch_execz .LBB4_1281
; %bb.1278:                             ;   in Loop: Header=BB4_979 Depth=2
	v_bfe_u32 v40, v41, 2, 5
	s_mov_b32 s21, exec_lo
	s_delay_alu instid0(VALU_DEP_1)
	v_cmpx_eq_u32_e32 0, v40
	s_cbranch_execz .LBB4_1280
; %bb.1279:                             ;   in Loop: Header=BB4_979 Depth=2
	v_clz_i32_u32_e32 v119, v119
	s_delay_alu instid0(VALU_DEP_1) | instskip(SKIP_1) | instid1(VALU_DEP_2)
	v_min_u32_e32 v40, 32, v119
	v_mov_b32_e32 v119, v65
	v_subrev_nc_u32_e32 v41, 29, v40
	v_sub_nc_u32_e32 v40, 30, v40
	s_delay_alu instid0(VALU_DEP_2) | instskip(NEXT) | instid1(VALU_DEP_1)
	v_lshlrev_b64_e32 v[118:119], v41, v[118:119]
	v_and_b32_e32 v119, 3, v118
.LBB4_1280:                             ;   in Loop: Header=BB4_979 Depth=2
	s_or_b32 exec_lo, exec_lo, s21
	v_lshlrev_b32_e32 v118, 16, v2
	s_delay_alu instid0(VALU_DEP_1) | instskip(NEXT) | instid1(VALU_DEP_1)
	v_and_b32_e32 v118, 0x80000000, v118
	v_lshl_add_u32 v118, v40, 23, v118
	s_delay_alu instid0(VALU_DEP_1) | instskip(NEXT) | instid1(VALU_DEP_1)
	v_lshl_or_b32 v118, v119, 21, v118
                                        ; implicit-def: $vgpr119
	v_add_nc_u32_e32 v40, 0x38000000, v118
.LBB4_1281:                             ;   in Loop: Header=BB4_979 Depth=2
	s_and_not1_saveexec_b32 s20, s20
; %bb.1282:                             ;   in Loop: Header=BB4_979 Depth=2
	v_cmp_lt_i16_e32 vcc_lo, -1, v2
	v_cndmask_b32_e32 v118, 0xff800000, v21, vcc_lo
	v_cmp_eq_u32_e32 vcc_lo, 0, v119
	s_delay_alu instid0(VALU_DEP_2)
	v_cndmask_b32_e32 v40, 0x7f800001, v118, vcc_lo
; %bb.1283:                             ;   in Loop: Header=BB4_979 Depth=2
	s_or_b32 exec_lo, exec_lo, s20
.LBB4_1284:                             ;   in Loop: Header=BB4_979 Depth=2
	s_delay_alu instid0(SALU_CYCLE_1)
	s_or_b32 exec_lo, exec_lo, s19
.LBB4_1285:                             ;   in Loop: Header=BB4_979 Depth=2
	s_delay_alu instid0(SALU_CYCLE_1) | instskip(SKIP_2) | instid1(VALU_DEP_1)
	s_or_b32 exec_lo, exec_lo, s7
	v_lshrrev_b16 v118, 8, v3
	s_mov_b32 s7, exec_lo
	v_cmpx_ne_u16_e32 0, v118
	s_cbranch_execz .LBB4_1295
; %bb.1286:                             ;   in Loop: Header=BB4_979 Depth=2
	v_bfrev_b32_e32 v30, 1
	s_mov_b32 s19, exec_lo
	v_cmpx_ne_u16_e32 0x80, v118
	s_cbranch_execz .LBB4_1294
; %bb.1287:                             ;   in Loop: Header=BB4_979 Depth=2
	v_and_b32_e32 v41, 0xffff, v118
	s_delay_alu instid0(VALU_DEP_1) | instskip(SKIP_1) | instid1(VALU_DEP_2)
	v_and_b32_e32 v30, 0x7c, v41
	v_and_b32_e32 v119, 3, v41
	v_cmp_ne_u32_e32 vcc_lo, 0x7c, v30
                                        ; implicit-def: $vgpr30
	s_and_saveexec_b32 s20, vcc_lo
	s_delay_alu instid0(SALU_CYCLE_1)
	s_xor_b32 s20, exec_lo, s20
	s_cbranch_execz .LBB4_1291
; %bb.1288:                             ;   in Loop: Header=BB4_979 Depth=2
	v_bfe_u32 v30, v41, 2, 5
	s_mov_b32 s21, exec_lo
	s_delay_alu instid0(VALU_DEP_1)
	v_cmpx_eq_u32_e32 0, v30
	s_cbranch_execz .LBB4_1290
; %bb.1289:                             ;   in Loop: Header=BB4_979 Depth=2
	v_clz_i32_u32_e32 v30, v119
	s_delay_alu instid0(VALU_DEP_1) | instskip(SKIP_1) | instid1(VALU_DEP_2)
	v_min_u32_e32 v30, 32, v30
	v_mov_b32_e32 v119, v65
	v_subrev_nc_u32_e32 v41, 29, v30
	v_sub_nc_u32_e32 v30, 30, v30
	s_delay_alu instid0(VALU_DEP_2) | instskip(NEXT) | instid1(VALU_DEP_1)
	v_lshlrev_b64_e32 v[118:119], v41, v[118:119]
	v_and_b32_e32 v119, 3, v118
.LBB4_1290:                             ;   in Loop: Header=BB4_979 Depth=2
	s_or_b32 exec_lo, exec_lo, s21
	v_lshlrev_b32_e32 v3, 16, v3
	s_delay_alu instid0(VALU_DEP_1) | instskip(NEXT) | instid1(VALU_DEP_1)
	v_and_b32_e32 v3, 0x80000000, v3
	v_lshl_add_u32 v3, v30, 23, v3
	s_delay_alu instid0(VALU_DEP_1) | instskip(NEXT) | instid1(VALU_DEP_1)
	v_lshl_or_b32 v3, v119, 21, v3
                                        ; implicit-def: $vgpr119
	v_add_nc_u32_e32 v30, 0x38000000, v3
                                        ; implicit-def: $vgpr3
.LBB4_1291:                             ;   in Loop: Header=BB4_979 Depth=2
	s_and_not1_saveexec_b32 s20, s20
; %bb.1292:                             ;   in Loop: Header=BB4_979 Depth=2
	v_cmp_lt_i16_e32 vcc_lo, -1, v3
	v_cndmask_b32_e32 v3, 0xff800000, v21, vcc_lo
	v_cmp_eq_u32_e32 vcc_lo, 0, v119
	s_delay_alu instid0(VALU_DEP_2)
	v_cndmask_b32_e32 v30, 0x7f800001, v3, vcc_lo
; %bb.1293:                             ;   in Loop: Header=BB4_979 Depth=2
	s_or_b32 exec_lo, exec_lo, s20
.LBB4_1294:                             ;   in Loop: Header=BB4_979 Depth=2
	s_delay_alu instid0(SALU_CYCLE_1)
	s_or_b32 exec_lo, exec_lo, s19
.LBB4_1295:                             ;   in Loop: Header=BB4_979 Depth=2
	s_delay_alu instid0(SALU_CYCLE_1) | instskip(NEXT) | instid1(VALU_DEP_1)
	s_or_b32 exec_lo, exec_lo, s7
	v_dual_add_f32 v30, v40, v30 :: v_dual_mov_b32 v41, v65
	v_mov_b32_e32 v119, v65
                                        ; implicit-def: $vgpr44
	s_mov_b32 s7, exec_lo
	s_delay_alu instid0(VALU_DEP_2) | instskip(SKIP_2) | instid1(VALU_DEP_3)
	v_and_b32_e32 v40, 0x7f800000, v30
	v_and_b32_e32 v118, 0x7fffff, v30
	v_lshrrev_b32_e32 v3, 24, v30
	v_cmpx_ne_u64_e32 0x7f800000, v[40:41]
	s_xor_b32 s19, exec_lo, s7
	s_cbranch_execz .LBB4_1309
; %bb.1296:                             ;   in Loop: Header=BB4_979 Depth=2
	v_and_b32_e32 v40, 0x7fffffff, v30
	v_mov_b32_e32 v41, v65
	v_and_b32_e32 v3, 0x80, v3
                                        ; implicit-def: $vgpr44
	s_mov_b32 s7, exec_lo
	s_delay_alu instid0(VALU_DEP_2)
	v_cmpx_gt_u64_e32 0x47600001, v[40:41]
	s_xor_b32 s20, exec_lo, s7
	s_cbranch_execz .LBB4_1306
; %bb.1297:                             ;   in Loop: Header=BB4_979 Depth=2
	v_mov_b32_e32 v44, 0
	s_mov_b32 s21, exec_lo
	v_cmpx_ne_u32_e32 0, v30
	s_cbranch_execz .LBB4_1305
; %bb.1298:                             ;   in Loop: Header=BB4_979 Depth=2
	v_bfe_u32 v30, v30, 23, 8
	v_or_b32_e32 v62, 0x800000, v118
	s_delay_alu instid0(VALU_DEP_2) | instskip(SKIP_1) | instid1(VALU_DEP_2)
	v_sub_nc_u32_e32 v40, 0x71, v30
	v_cmp_gt_u32_e32 vcc_lo, 0x72, v30
	v_cndmask_b32_e32 v40, 0, v40, vcc_lo
	v_cmp_eq_u32_e32 vcc_lo, 0, v30
	v_cndmask_b32_e32 v118, v62, v118, vcc_lo
	s_delay_alu instid0(VALU_DEP_3) | instskip(NEXT) | instid1(VALU_DEP_1)
	v_cndmask_b32_e64 v44, v40, 0x70, vcc_lo
	v_dual_add_nc_u32 v40, 21, v44 :: v_dual_add_nc_u32 v63, 20, v44
	s_delay_alu instid0(VALU_DEP_1) | instskip(NEXT) | instid1(VALU_DEP_2)
	v_lshlrev_b64_e64 v[40:41], v40, -1
	v_lshlrev_b64_e64 v[62:63], v63, 1
	s_delay_alu instid0(VALU_DEP_2) | instskip(SKIP_1) | instid1(VALU_DEP_4)
	v_bfi_b32 v40, v40, 0, v118
	v_lshrrev_b64 v[118:119], v44, v[118:119]
	v_bfi_b32 v41, v41, 0, 0
	s_delay_alu instid0(VALU_DEP_1) | instskip(NEXT) | instid1(VALU_DEP_3)
	v_cmp_eq_u64_e64 s7, v[40:41], v[62:63]
	v_mov_b64_e32 v[40:41], v[118:119]
	s_and_saveexec_b32 s22, s7
; %bb.1299:                             ;   in Loop: Header=BB4_979 Depth=2
	v_bfe_u32 v40, v118, 21, 1
	v_mov_b32_e32 v41, v65
	s_delay_alu instid0(VALU_DEP_1) | instskip(NEXT) | instid1(VALU_DEP_1)
	v_add_nc_u64_e32 v[40:41], v[118:119], v[40:41]
	v_add_nc_u64_e32 v[40:41], -1, v[40:41]
; %bb.1300:                             ;   in Loop: Header=BB4_979 Depth=2
	s_or_b32 exec_lo, exec_lo, s22
	v_add_nc_u32_e32 v30, 0xffffff81, v30
	v_lshrrev_b32_e32 v119, 23, v118
	s_mov_b32 s7, exec_lo
	s_delay_alu instid0(VALU_DEP_2) | instskip(NEXT) | instid1(VALU_DEP_1)
	v_cndmask_b32_e64 v30, v30, 0xffffff82, vcc_lo
	v_add3_u32 v41, v44, v30, v119
	v_and_b32_e32 v30, 0x1fffff, v40
	s_delay_alu instid0(VALU_DEP_2) | instskip(NEXT) | instid1(VALU_DEP_2)
	v_dual_mov_b32 v119, v65 :: v_dual_add_nc_u32 v40, 14, v41
	v_add_nc_u32_e32 v118, v30, v118
                                        ; implicit-def: $vgpr30
	s_delay_alu instid0(VALU_DEP_2)
	v_cmpx_ne_u32_e32 0, v40
	s_xor_b32 s7, exec_lo, s7
; %bb.1301:                             ;   in Loop: Header=BB4_979 Depth=2
	s_delay_alu instid0(VALU_DEP_2) | instskip(SKIP_1) | instid1(VALU_DEP_1)
	v_cmp_lt_u64_e32 vcc_lo, 0xffffff, v[118:119]
	v_add_nc_u32_e32 v30, 15, v41
	v_cndmask_b32_e32 v30, v40, v30, vcc_lo
	v_cndmask_b32_e64 v40, 0, 1, vcc_lo
	s_delay_alu instid0(VALU_DEP_1)
	v_lshrrev_b64 v[118:119], v40, v[118:119]
; %bb.1302:                             ;   in Loop: Header=BB4_979 Depth=2
	s_and_not1_saveexec_b32 s7, s7
; %bb.1303:                             ;   in Loop: Header=BB4_979 Depth=2
	s_delay_alu instid0(VALU_DEP_1)
	v_bfe_u32 v30, v118, 23, 1
; %bb.1304:                             ;   in Loop: Header=BB4_979 Depth=2
	s_or_b32 exec_lo, exec_lo, s7
	s_delay_alu instid0(VALU_DEP_2) | instskip(NEXT) | instid1(VALU_DEP_2)
	v_lshrrev_b64 v[118:119], 21, v[118:119]
	v_cmp_gt_i32_e32 vcc_lo, 32, v30
	v_min_i32_e32 v40, 31, v30
	v_cmp_eq_u32_e64 s7, 0, v30
	s_delay_alu instid0(VALU_DEP_2) | instskip(SKIP_1) | instid1(VALU_DEP_2)
	v_dual_cndmask_b32 v119, 0, v119 :: v_dual_lshlrev_b32 v40, 2, v40
	v_cndmask_b32_e32 v118, 3, v118, vcc_lo
	v_and_b32_e32 v40, 0xfc, v40
	s_delay_alu instid0(VALU_DEP_2) | instskip(NEXT) | instid1(VALU_DEP_2)
	v_cmp_eq_u64_e32 vcc_lo, 0, v[118:119]
	v_and_or_b32 v30, v118, 3, v40
	s_and_b32 s7, s7, vcc_lo
	s_delay_alu instid0(VALU_DEP_1) | instid1(SALU_CYCLE_1)
	v_cndmask_b32_e64 v30, v30, 0, s7
	s_delay_alu instid0(VALU_DEP_1)
	v_or_b32_e32 v44, v30, v3
.LBB4_1305:                             ;   in Loop: Header=BB4_979 Depth=2
	s_or_b32 exec_lo, exec_lo, s21
                                        ; implicit-def: $vgpr3
.LBB4_1306:                             ;   in Loop: Header=BB4_979 Depth=2
	s_and_not1_saveexec_b32 s7, s20
; %bb.1307:                             ;   in Loop: Header=BB4_979 Depth=2
	v_or_b32_e32 v44, 0x7b, v3
; %bb.1308:                             ;   in Loop: Header=BB4_979 Depth=2
	s_or_b32 exec_lo, exec_lo, s7
                                        ; implicit-def: $vgpr30
                                        ; implicit-def: $vgpr118_vgpr119
                                        ; implicit-def: $vgpr3
.LBB4_1309:                             ;   in Loop: Header=BB4_979 Depth=2
	s_and_not1_saveexec_b32 s7, s19
	s_cbranch_execz .LBB4_1315
; %bb.1310:                             ;   in Loop: Header=BB4_979 Depth=2
	s_mov_b32 s19, exec_lo
                                        ; implicit-def: $vgpr44
	v_cmpx_ne_u64_e32 0, v[118:119]
	s_xor_b32 s19, exec_lo, s19
; %bb.1311:                             ;   in Loop: Header=BB4_979 Depth=2
	v_or_b32_e32 v44, 0x7f, v3
                                        ; implicit-def: $vgpr30
; %bb.1312:                             ;   in Loop: Header=BB4_979 Depth=2
	s_and_not1_saveexec_b32 s19, s19
; %bb.1313:                             ;   in Loop: Header=BB4_979 Depth=2
	v_cmp_lt_i32_e32 vcc_lo, -1, v30
	v_cndmask_b32_e32 v44, 0xfc, v59, vcc_lo
; %bb.1314:                             ;   in Loop: Header=BB4_979 Depth=2
	s_or_b32 exec_lo, exec_lo, s19
.LBB4_1315:                             ;   in Loop: Header=BB4_979 Depth=2
	s_delay_alu instid0(SALU_CYCLE_1) | instskip(SKIP_3) | instid1(VALU_DEP_2)
	s_or_b32 exec_lo, exec_lo, s7
	v_dual_lshrrev_b32 v30, 16, v2 :: v_dual_mov_b32 v118, 0
	v_mov_b32_e32 v3, 0
	s_mov_b32 s7, exec_lo
	v_and_b32_e32 v119, 0xff, v30
	s_delay_alu instid0(VALU_DEP_1)
	v_cmpx_ne_u16_e32 0, v119
	s_cbranch_execz .LBB4_1325
; %bb.1316:                             ;   in Loop: Header=BB4_979 Depth=2
	v_bfrev_b32_e32 v3, 1
	s_mov_b32 s19, exec_lo
	v_cmpx_ne_u16_e32 0x80, v119
	s_cbranch_execz .LBB4_1324
; %bb.1317:                             ;   in Loop: Header=BB4_979 Depth=2
	v_and_b32_e32 v3, 0x7c0000, v2
	v_bfe_u32 v119, v2, 16, 2
	s_delay_alu instid0(VALU_DEP_2) | instskip(SKIP_1) | instid1(SALU_CYCLE_1)
	v_cmp_ne_u32_e32 vcc_lo, 0x7c0000, v3
                                        ; implicit-def: $vgpr3
	s_and_saveexec_b32 s20, vcc_lo
	s_xor_b32 s20, exec_lo, s20
	s_cbranch_execz .LBB4_1321
; %bb.1318:                             ;   in Loop: Header=BB4_979 Depth=2
	v_bfe_u32 v3, v2, 18, 5
	s_mov_b32 s21, exec_lo
	s_delay_alu instid0(VALU_DEP_1)
	v_cmpx_eq_u32_e32 0, v3
; %bb.1319:                             ;   in Loop: Header=BB4_979 Depth=2
	v_clz_i32_u32_e32 v3, v119
	s_delay_alu instid0(VALU_DEP_1) | instskip(NEXT) | instid1(VALU_DEP_1)
	v_min_u32_e32 v3, 32, v3
	v_subrev_nc_u32_e32 v119, 29, v3
	s_delay_alu instid0(VALU_DEP_1) | instskip(NEXT) | instid1(VALU_DEP_1)
	v_lshlrev_b64_e32 v[40:41], v119, v[30:31]
	v_dual_sub_nc_u32 v3, 30, v3 :: v_dual_bitop2_b32 v119, 3, v40 bitop3:0x40
; %bb.1320:                             ;   in Loop: Header=BB4_979 Depth=2
	s_or_b32 exec_lo, exec_lo, s21
	v_lshlrev_b32_e32 v30, 24, v30
	s_delay_alu instid0(VALU_DEP_1) | instskip(NEXT) | instid1(VALU_DEP_1)
	v_and_b32_e32 v30, 0x80000000, v30
	v_lshl_add_u32 v3, v3, 23, v30
                                        ; implicit-def: $vgpr30
	s_delay_alu instid0(VALU_DEP_1) | instskip(NEXT) | instid1(VALU_DEP_1)
	v_lshl_or_b32 v3, v119, 21, v3
                                        ; implicit-def: $vgpr119
	v_add_nc_u32_e32 v3, 0x38000000, v3
.LBB4_1321:                             ;   in Loop: Header=BB4_979 Depth=2
	s_and_not1_saveexec_b32 s20, s20
; %bb.1322:                             ;   in Loop: Header=BB4_979 Depth=2
	v_bfe_i32 v3, v30, 0, 8
	s_delay_alu instid0(VALU_DEP_1) | instskip(SKIP_2) | instid1(VALU_DEP_2)
	v_cmp_lt_i16_e32 vcc_lo, -1, v3
	v_cndmask_b32_e32 v3, 0xff800000, v21, vcc_lo
	v_cmp_eq_u32_e32 vcc_lo, 0, v119
	v_cndmask_b32_e32 v3, 0x7f800001, v3, vcc_lo
; %bb.1323:                             ;   in Loop: Header=BB4_979 Depth=2
	s_or_b32 exec_lo, exec_lo, s20
.LBB4_1324:                             ;   in Loop: Header=BB4_979 Depth=2
	s_delay_alu instid0(SALU_CYCLE_1)
	s_or_b32 exec_lo, exec_lo, s19
.LBB4_1325:                             ;   in Loop: Header=BB4_979 Depth=2
	s_delay_alu instid0(SALU_CYCLE_1) | instskip(SKIP_2) | instid1(VALU_DEP_1)
	s_or_b32 exec_lo, exec_lo, s7
	v_lshrrev_b32_e32 v30, 16, v64
	s_mov_b32 s7, exec_lo
	v_and_b32_e32 v119, 0xff, v30
	s_delay_alu instid0(VALU_DEP_1)
	v_cmpx_ne_u16_e32 0, v119
	s_cbranch_execz .LBB4_1335
; %bb.1326:                             ;   in Loop: Header=BB4_979 Depth=2
	v_bfrev_b32_e32 v118, 1
	s_mov_b32 s19, exec_lo
	v_cmpx_ne_u16_e32 0x80, v119
	s_cbranch_execz .LBB4_1334
; %bb.1327:                             ;   in Loop: Header=BB4_979 Depth=2
	v_and_b32_e32 v118, 0x7c0000, v64
	v_bfe_u32 v119, v64, 16, 2
	s_delay_alu instid0(VALU_DEP_2) | instskip(SKIP_1) | instid1(SALU_CYCLE_1)
	v_cmp_ne_u32_e32 vcc_lo, 0x7c0000, v118
                                        ; implicit-def: $vgpr118
	s_and_saveexec_b32 s20, vcc_lo
	s_xor_b32 s20, exec_lo, s20
	s_cbranch_execz .LBB4_1331
; %bb.1328:                             ;   in Loop: Header=BB4_979 Depth=2
	v_bfe_u32 v118, v64, 18, 5
	v_lshrrev_b32_e32 v30, 16, v64
	s_mov_b32 s21, exec_lo
	s_delay_alu instid0(VALU_DEP_2)
	v_cmpx_eq_u32_e32 0, v118
; %bb.1329:                             ;   in Loop: Header=BB4_979 Depth=2
	v_clz_i32_u32_e32 v118, v119
	s_delay_alu instid0(VALU_DEP_1) | instskip(NEXT) | instid1(VALU_DEP_1)
	v_min_u32_e32 v118, 32, v118
	v_subrev_nc_u32_e32 v119, 29, v118
	s_delay_alu instid0(VALU_DEP_1) | instskip(NEXT) | instid1(VALU_DEP_1)
	v_lshlrev_b64_e32 v[40:41], v119, v[30:31]
	v_dual_sub_nc_u32 v118, 30, v118 :: v_dual_bitop2_b32 v119, 3, v40 bitop3:0x40
; %bb.1330:                             ;   in Loop: Header=BB4_979 Depth=2
	s_or_b32 exec_lo, exec_lo, s21
	v_lshlrev_b32_e32 v30, 24, v30
	s_delay_alu instid0(VALU_DEP_1) | instskip(NEXT) | instid1(VALU_DEP_1)
	v_and_b32_e32 v30, 0x80000000, v30
	v_lshl_add_u32 v30, v118, 23, v30
	s_delay_alu instid0(VALU_DEP_1) | instskip(NEXT) | instid1(VALU_DEP_1)
	v_lshl_or_b32 v30, v119, 21, v30
                                        ; implicit-def: $vgpr119
	v_add_nc_u32_e32 v118, 0x38000000, v30
                                        ; implicit-def: $vgpr30
.LBB4_1331:                             ;   in Loop: Header=BB4_979 Depth=2
	s_and_not1_saveexec_b32 s20, s20
; %bb.1332:                             ;   in Loop: Header=BB4_979 Depth=2
	v_bfe_i32 v30, v30, 0, 8
	s_delay_alu instid0(VALU_DEP_1) | instskip(SKIP_2) | instid1(VALU_DEP_2)
	v_cmp_lt_i16_e32 vcc_lo, -1, v30
	v_cndmask_b32_e32 v30, 0xff800000, v21, vcc_lo
	v_cmp_eq_u32_e32 vcc_lo, 0, v119
	v_cndmask_b32_e32 v118, 0x7f800001, v30, vcc_lo
; %bb.1333:                             ;   in Loop: Header=BB4_979 Depth=2
	s_or_b32 exec_lo, exec_lo, s20
.LBB4_1334:                             ;   in Loop: Header=BB4_979 Depth=2
	s_delay_alu instid0(SALU_CYCLE_1)
	s_or_b32 exec_lo, exec_lo, s19
.LBB4_1335:                             ;   in Loop: Header=BB4_979 Depth=2
	s_delay_alu instid0(SALU_CYCLE_1) | instskip(NEXT) | instid1(VALU_DEP_1)
	s_or_b32 exec_lo, exec_lo, s7
	v_dual_add_f32 v30, v3, v118 :: v_dual_mov_b32 v41, v65
	s_delay_alu instid0(VALU_DEP_1) | instskip(SKIP_2) | instid1(VALU_DEP_2)
	v_dual_mov_b32 v119, v65 :: v_dual_lshrrev_b32 v3, 24, v30
	v_and_b32_e32 v40, 0x7f800000, v30
	v_and_b32_e32 v118, 0x7fffff, v30
	v_cmp_ne_u64_e32 vcc_lo, 0x7f800000, v[40:41]
                                        ; implicit-def: $vgpr40
	s_and_saveexec_b32 s7, vcc_lo
	s_delay_alu instid0(SALU_CYCLE_1)
	s_xor_b32 s19, exec_lo, s7
	s_cbranch_execz .LBB4_1349
; %bb.1336:                             ;   in Loop: Header=BB4_979 Depth=2
	v_and_b32_e32 v40, 0x7fffffff, v30
	v_mov_b32_e32 v41, v65
	v_and_b32_e32 v3, 0x80, v3
	s_delay_alu instid0(VALU_DEP_2) | instskip(SKIP_1) | instid1(SALU_CYCLE_1)
	v_cmp_gt_u64_e32 vcc_lo, 0x47600001, v[40:41]
                                        ; implicit-def: $vgpr40
	s_and_saveexec_b32 s7, vcc_lo
	s_xor_b32 s20, exec_lo, s7
	s_cbranch_execz .LBB4_1346
; %bb.1337:                             ;   in Loop: Header=BB4_979 Depth=2
	v_mov_b32_e32 v40, 0
	s_mov_b32 s21, exec_lo
	v_cmpx_ne_u32_e32 0, v30
	s_cbranch_execz .LBB4_1345
; %bb.1338:                             ;   in Loop: Header=BB4_979 Depth=2
	v_bfe_u32 v30, v30, 23, 8
	v_or_b32_e32 v63, 0x800000, v118
	s_delay_alu instid0(VALU_DEP_2) | instskip(SKIP_1) | instid1(VALU_DEP_2)
	v_sub_nc_u32_e32 v40, 0x71, v30
	v_cmp_gt_u32_e32 vcc_lo, 0x72, v30
	v_cndmask_b32_e32 v40, 0, v40, vcc_lo
	v_cmp_eq_u32_e32 vcc_lo, 0, v30
	s_delay_alu instid0(VALU_DEP_2) | instskip(SKIP_1) | instid1(VALU_DEP_2)
	v_cndmask_b32_e64 v62, v40, 0x70, vcc_lo
	v_cndmask_b32_e32 v118, v63, v118, vcc_lo
	v_dual_add_nc_u32 v40, 21, v62 :: v_dual_add_nc_u32 v72, 20, v62
	s_delay_alu instid0(VALU_DEP_1) | instskip(NEXT) | instid1(VALU_DEP_2)
	v_lshlrev_b64_e64 v[40:41], v40, -1
	v_lshlrev_b64_e64 v[72:73], v72, 1
	s_delay_alu instid0(VALU_DEP_2) | instskip(SKIP_1) | instid1(VALU_DEP_4)
	v_bfi_b32 v40, v40, 0, v118
	v_lshrrev_b64 v[118:119], v62, v[118:119]
	v_bfi_b32 v41, v41, 0, 0
	s_delay_alu instid0(VALU_DEP_1) | instskip(NEXT) | instid1(VALU_DEP_3)
	v_cmp_eq_u64_e64 s7, v[40:41], v[72:73]
	v_mov_b64_e32 v[40:41], v[118:119]
	s_and_saveexec_b32 s22, s7
; %bb.1339:                             ;   in Loop: Header=BB4_979 Depth=2
	v_bfe_u32 v40, v118, 21, 1
	v_mov_b32_e32 v41, v65
	s_delay_alu instid0(VALU_DEP_1) | instskip(NEXT) | instid1(VALU_DEP_1)
	v_add_nc_u64_e32 v[40:41], v[118:119], v[40:41]
	v_add_nc_u64_e32 v[40:41], -1, v[40:41]
; %bb.1340:                             ;   in Loop: Header=BB4_979 Depth=2
	s_or_b32 exec_lo, exec_lo, s22
	v_add_nc_u32_e32 v30, 0xffffff81, v30
	v_lshrrev_b32_e32 v119, 23, v118
	s_mov_b32 s7, exec_lo
	s_delay_alu instid0(VALU_DEP_2) | instskip(NEXT) | instid1(VALU_DEP_1)
	v_cndmask_b32_e64 v30, v30, 0xffffff82, vcc_lo
	v_add3_u32 v41, v62, v30, v119
	v_and_b32_e32 v30, 0x1fffff, v40
	s_delay_alu instid0(VALU_DEP_2) | instskip(NEXT) | instid1(VALU_DEP_2)
	v_dual_mov_b32 v119, v65 :: v_dual_add_nc_u32 v40, 14, v41
	v_add_nc_u32_e32 v118, v30, v118
                                        ; implicit-def: $vgpr30
	s_delay_alu instid0(VALU_DEP_2)
	v_cmpx_ne_u32_e32 0, v40
	s_xor_b32 s7, exec_lo, s7
; %bb.1341:                             ;   in Loop: Header=BB4_979 Depth=2
	s_delay_alu instid0(VALU_DEP_2) | instskip(SKIP_1) | instid1(VALU_DEP_1)
	v_cmp_lt_u64_e32 vcc_lo, 0xffffff, v[118:119]
	v_add_nc_u32_e32 v30, 15, v41
	v_cndmask_b32_e32 v30, v40, v30, vcc_lo
	v_cndmask_b32_e64 v40, 0, 1, vcc_lo
	s_delay_alu instid0(VALU_DEP_1)
	v_lshrrev_b64 v[118:119], v40, v[118:119]
; %bb.1342:                             ;   in Loop: Header=BB4_979 Depth=2
	s_and_not1_saveexec_b32 s7, s7
; %bb.1343:                             ;   in Loop: Header=BB4_979 Depth=2
	s_delay_alu instid0(VALU_DEP_1)
	v_bfe_u32 v30, v118, 23, 1
; %bb.1344:                             ;   in Loop: Header=BB4_979 Depth=2
	s_or_b32 exec_lo, exec_lo, s7
	s_delay_alu instid0(VALU_DEP_2) | instskip(NEXT) | instid1(VALU_DEP_2)
	v_lshrrev_b64 v[118:119], 21, v[118:119]
	v_cmp_gt_i32_e32 vcc_lo, 32, v30
	v_min_i32_e32 v40, 31, v30
	v_cmp_eq_u32_e64 s7, 0, v30
	s_delay_alu instid0(VALU_DEP_2) | instskip(SKIP_1) | instid1(VALU_DEP_2)
	v_dual_cndmask_b32 v119, 0, v119 :: v_dual_lshlrev_b32 v40, 2, v40
	v_cndmask_b32_e32 v118, 3, v118, vcc_lo
	v_and_b32_e32 v40, 0xfc, v40
	s_delay_alu instid0(VALU_DEP_2) | instskip(NEXT) | instid1(VALU_DEP_2)
	v_cmp_eq_u64_e32 vcc_lo, 0, v[118:119]
	v_and_or_b32 v30, v118, 3, v40
	s_and_b32 s7, s7, vcc_lo
	s_delay_alu instid0(VALU_DEP_1) | instid1(SALU_CYCLE_1)
	v_cndmask_b32_e64 v30, v30, 0, s7
	s_delay_alu instid0(VALU_DEP_1)
	v_or_b32_e32 v40, v30, v3
.LBB4_1345:                             ;   in Loop: Header=BB4_979 Depth=2
	s_or_b32 exec_lo, exec_lo, s21
                                        ; implicit-def: $vgpr3
.LBB4_1346:                             ;   in Loop: Header=BB4_979 Depth=2
	s_and_not1_saveexec_b32 s7, s20
; %bb.1347:                             ;   in Loop: Header=BB4_979 Depth=2
	v_or_b32_e32 v40, 0x7b, v3
; %bb.1348:                             ;   in Loop: Header=BB4_979 Depth=2
	s_or_b32 exec_lo, exec_lo, s7
                                        ; implicit-def: $vgpr30
                                        ; implicit-def: $vgpr118_vgpr119
                                        ; implicit-def: $vgpr3
.LBB4_1349:                             ;   in Loop: Header=BB4_979 Depth=2
	s_and_not1_saveexec_b32 s7, s19
	s_cbranch_execz .LBB4_1355
; %bb.1350:                             ;   in Loop: Header=BB4_979 Depth=2
	s_mov_b32 s19, exec_lo
                                        ; implicit-def: $vgpr40
	v_cmpx_ne_u64_e32 0, v[118:119]
	s_xor_b32 s19, exec_lo, s19
; %bb.1351:                             ;   in Loop: Header=BB4_979 Depth=2
	v_or_b32_e32 v40, 0x7f, v3
                                        ; implicit-def: $vgpr30
; %bb.1352:                             ;   in Loop: Header=BB4_979 Depth=2
	s_and_not1_saveexec_b32 s19, s19
; %bb.1353:                             ;   in Loop: Header=BB4_979 Depth=2
	v_cmp_lt_i32_e32 vcc_lo, -1, v30
	v_cndmask_b32_e32 v40, 0xfc, v59, vcc_lo
; %bb.1354:                             ;   in Loop: Header=BB4_979 Depth=2
	s_or_b32 exec_lo, exec_lo, s19
.LBB4_1355:                             ;   in Loop: Header=BB4_979 Depth=2
	s_delay_alu instid0(SALU_CYCLE_1)
	s_or_b32 exec_lo, exec_lo, s7
	v_dual_mov_b32 v3, 0 :: v_dual_mov_b32 v118, 0
	s_mov_b32 s7, exec_lo
	v_cmpx_lt_u32_e32 0xffffff, v2
	s_cbranch_execz .LBB4_1365
; %bb.1356:                             ;   in Loop: Header=BB4_979 Depth=2
	v_lshrrev_b32_e32 v30, 24, v2
	v_bfrev_b32_e32 v118, 1
	s_mov_b32 s19, exec_lo
	s_delay_alu instid0(VALU_DEP_2)
	v_cmpx_ne_u32_e32 0x80, v30
	s_cbranch_execz .LBB4_1364
; %bb.1357:                             ;   in Loop: Header=BB4_979 Depth=2
	v_and_b32_e32 v118, 0x7c000000, v2
	v_bfe_u32 v119, v2, 24, 2
	s_delay_alu instid0(VALU_DEP_2) | instskip(SKIP_1) | instid1(SALU_CYCLE_1)
	v_cmp_ne_u32_e32 vcc_lo, 0x7c000000, v118
                                        ; implicit-def: $vgpr118
	s_and_saveexec_b32 s20, vcc_lo
	s_xor_b32 s20, exec_lo, s20
	s_cbranch_execz .LBB4_1361
; %bb.1358:                             ;   in Loop: Header=BB4_979 Depth=2
	v_bfe_u32 v118, v2, 26, 5
	s_mov_b32 s21, exec_lo
	s_delay_alu instid0(VALU_DEP_1)
	v_cmpx_eq_u32_e32 0, v118
; %bb.1359:                             ;   in Loop: Header=BB4_979 Depth=2
	v_clz_i32_u32_e32 v118, v119
	s_delay_alu instid0(VALU_DEP_1) | instskip(NEXT) | instid1(VALU_DEP_1)
	v_min_u32_e32 v118, 32, v118
	v_subrev_nc_u32_e32 v119, 29, v118
	v_sub_nc_u32_e32 v118, 30, v118
	s_delay_alu instid0(VALU_DEP_2) | instskip(NEXT) | instid1(VALU_DEP_1)
	v_lshlrev_b64_e32 v[62:63], v119, v[30:31]
	v_and_b32_e32 v119, 3, v62
; %bb.1360:                             ;   in Loop: Header=BB4_979 Depth=2
	s_or_b32 exec_lo, exec_lo, s21
	v_and_b32_e32 v2, 0x80000000, v2
	s_delay_alu instid0(VALU_DEP_1) | instskip(NEXT) | instid1(VALU_DEP_1)
	v_lshl_add_u32 v2, v118, 23, v2
	v_lshl_or_b32 v2, v119, 21, v2
                                        ; implicit-def: $vgpr119
	s_delay_alu instid0(VALU_DEP_1)
	v_add_nc_u32_e32 v118, 0x38000000, v2
.LBB4_1361:                             ;   in Loop: Header=BB4_979 Depth=2
	s_and_not1_saveexec_b32 s20, s20
; %bb.1362:                             ;   in Loop: Header=BB4_979 Depth=2
	v_cmp_lt_i32_e32 vcc_lo, -1, v2
	v_cndmask_b32_e32 v2, 0xff800000, v21, vcc_lo
	v_cmp_eq_u32_e32 vcc_lo, 0, v119
	s_delay_alu instid0(VALU_DEP_2)
	v_cndmask_b32_e32 v118, 0x7f800001, v2, vcc_lo
; %bb.1363:                             ;   in Loop: Header=BB4_979 Depth=2
	s_or_b32 exec_lo, exec_lo, s20
.LBB4_1364:                             ;   in Loop: Header=BB4_979 Depth=2
	s_delay_alu instid0(SALU_CYCLE_1)
	s_or_b32 exec_lo, exec_lo, s19
.LBB4_1365:                             ;   in Loop: Header=BB4_979 Depth=2
	s_delay_alu instid0(SALU_CYCLE_1) | instskip(NEXT) | instid1(SALU_CYCLE_1)
	s_or_b32 exec_lo, exec_lo, s7
	s_mov_b32 s7, exec_lo
	v_cmpx_lt_u32_e32 0xffffff, v64
	s_cbranch_execz .LBB4_1375
; %bb.1366:                             ;   in Loop: Header=BB4_979 Depth=2
	v_lshrrev_b32_e32 v2, 24, v64
	v_bfrev_b32_e32 v3, 1
	s_mov_b32 s19, exec_lo
	s_delay_alu instid0(VALU_DEP_2)
	v_cmpx_ne_u32_e32 0x80, v2
	s_cbranch_execz .LBB4_1374
; %bb.1367:                             ;   in Loop: Header=BB4_979 Depth=2
	v_and_b32_e32 v3, 0x7c000000, v64
	v_bfe_u32 v30, v64, 24, 2
	s_delay_alu instid0(VALU_DEP_2) | instskip(SKIP_1) | instid1(SALU_CYCLE_1)
	v_cmp_ne_u32_e32 vcc_lo, 0x7c000000, v3
                                        ; implicit-def: $vgpr3
	s_and_saveexec_b32 s20, vcc_lo
	s_xor_b32 s20, exec_lo, s20
	s_cbranch_execz .LBB4_1371
; %bb.1368:                             ;   in Loop: Header=BB4_979 Depth=2
	v_bfe_u32 v3, v64, 26, 5
	s_mov_b32 s21, exec_lo
	s_delay_alu instid0(VALU_DEP_1)
	v_cmpx_eq_u32_e32 0, v3
; %bb.1369:                             ;   in Loop: Header=BB4_979 Depth=2
	v_clz_i32_u32_e32 v3, v30
	s_delay_alu instid0(VALU_DEP_1) | instskip(NEXT) | instid1(VALU_DEP_1)
	v_min_u32_e32 v30, 32, v3
	v_subrev_nc_u32_e32 v3, 29, v30
	s_delay_alu instid0(VALU_DEP_1) | instskip(SKIP_1) | instid1(VALU_DEP_2)
	v_lshlrev_b64_e32 v[2:3], v3, v[2:3]
	v_sub_nc_u32_e32 v3, 30, v30
	v_and_b32_e32 v30, 3, v2
; %bb.1370:                             ;   in Loop: Header=BB4_979 Depth=2
	s_or_b32 exec_lo, exec_lo, s21
	v_and_b32_e32 v2, 0x80000000, v64
	s_delay_alu instid0(VALU_DEP_1) | instskip(NEXT) | instid1(VALU_DEP_1)
	v_lshl_add_u32 v2, v3, 23, v2
	v_lshl_or_b32 v2, v30, 21, v2
                                        ; implicit-def: $vgpr30
	s_delay_alu instid0(VALU_DEP_1)
	v_add_nc_u32_e32 v3, 0x38000000, v2
.LBB4_1371:                             ;   in Loop: Header=BB4_979 Depth=2
	s_and_not1_saveexec_b32 s20, s20
; %bb.1372:                             ;   in Loop: Header=BB4_979 Depth=2
	v_cmp_lt_i32_e32 vcc_lo, -1, v64
	v_cndmask_b32_e32 v2, 0xff800000, v21, vcc_lo
	v_cmp_eq_u32_e32 vcc_lo, 0, v30
	s_delay_alu instid0(VALU_DEP_2)
	v_cndmask_b32_e32 v3, 0x7f800001, v2, vcc_lo
; %bb.1373:                             ;   in Loop: Header=BB4_979 Depth=2
	s_or_b32 exec_lo, exec_lo, s20
.LBB4_1374:                             ;   in Loop: Header=BB4_979 Depth=2
	s_delay_alu instid0(SALU_CYCLE_1)
	s_or_b32 exec_lo, exec_lo, s19
.LBB4_1375:                             ;   in Loop: Header=BB4_979 Depth=2
	s_delay_alu instid0(SALU_CYCLE_1) | instskip(NEXT) | instid1(VALU_DEP_1)
	s_or_b32 exec_lo, exec_lo, s7
	v_dual_add_f32 v2, v118, v3 :: v_dual_mov_b32 v119, v65
                                        ; implicit-def: $vgpr41
	s_mov_b32 s7, exec_lo
	s_delay_alu instid0(VALU_DEP_1) | instskip(SKIP_2) | instid1(VALU_DEP_3)
	v_and_b32_e32 v118, 0x7f800000, v2
	v_and_b32_e32 v64, 0x7fffff, v2
	v_lshrrev_b32_e32 v3, 24, v2
	v_cmpx_ne_u64_e32 0x7f800000, v[118:119]
	s_xor_b32 s19, exec_lo, s7
	s_cbranch_execz .LBB4_1389
; %bb.1376:                             ;   in Loop: Header=BB4_979 Depth=2
	v_and_b32_e32 v118, 0x7fffffff, v2
	v_mov_b32_e32 v119, v65
	v_and_b32_e32 v30, 0x80, v3
                                        ; implicit-def: $vgpr41
	s_mov_b32 s7, exec_lo
	s_delay_alu instid0(VALU_DEP_2)
	v_cmpx_gt_u64_e32 0x47600001, v[118:119]
	s_xor_b32 s20, exec_lo, s7
	s_cbranch_execz .LBB4_1386
; %bb.1377:                             ;   in Loop: Header=BB4_979 Depth=2
	v_mov_b32_e32 v41, 0
	s_mov_b32 s21, exec_lo
	v_cmpx_ne_u32_e32 0, v2
	s_cbranch_execz .LBB4_1385
; %bb.1378:                             ;   in Loop: Header=BB4_979 Depth=2
	v_bfe_u32 v41, v2, 23, 8
	v_or_b32_e32 v118, 0x800000, v64
	s_delay_alu instid0(VALU_DEP_2) | instskip(SKIP_1) | instid1(VALU_DEP_2)
	v_sub_nc_u32_e32 v2, 0x71, v41
	v_cmp_gt_u32_e32 vcc_lo, 0x72, v41
	v_cndmask_b32_e32 v2, 0, v2, vcc_lo
	v_cmp_eq_u32_e32 vcc_lo, 0, v41
	v_cndmask_b32_e32 v64, v118, v64, vcc_lo
	s_delay_alu instid0(VALU_DEP_3) | instskip(NEXT) | instid1(VALU_DEP_1)
	v_cndmask_b32_e64 v62, v2, 0x70, vcc_lo
	v_dual_add_nc_u32 v2, 21, v62 :: v_dual_add_nc_u32 v119, 20, v62
	s_delay_alu instid0(VALU_DEP_1) | instskip(NEXT) | instid1(VALU_DEP_2)
	v_lshlrev_b64_e64 v[2:3], v2, -1
	v_lshlrev_b64_e64 v[118:119], v119, 1
	s_delay_alu instid0(VALU_DEP_2) | instskip(NEXT) | instid1(VALU_DEP_3)
	v_bfi_b32 v73, v3, 0, 0
	v_bfi_b32 v72, v2, 0, v64
	v_lshrrev_b64 v[2:3], v62, v[64:65]
	s_delay_alu instid0(VALU_DEP_2) | instskip(NEXT) | instid1(VALU_DEP_2)
	v_cmp_eq_u64_e64 s7, v[72:73], v[118:119]
	v_mov_b64_e32 v[118:119], v[2:3]
	s_and_saveexec_b32 s22, s7
; %bb.1379:                             ;   in Loop: Header=BB4_979 Depth=2
	v_bfe_u32 v64, v2, 21, 1
	s_delay_alu instid0(VALU_DEP_1) | instskip(NEXT) | instid1(VALU_DEP_1)
	v_add_nc_u64_e32 v[118:119], v[2:3], v[64:65]
	v_add_nc_u64_e32 v[118:119], -1, v[118:119]
; %bb.1380:                             ;   in Loop: Header=BB4_979 Depth=2
	s_or_b32 exec_lo, exec_lo, s22
	v_add_nc_u32_e32 v3, 0xffffff81, v41
	v_lshrrev_b32_e32 v64, 23, v2
	s_mov_b32 s7, exec_lo
	s_delay_alu instid0(VALU_DEP_2) | instskip(NEXT) | instid1(VALU_DEP_1)
	v_cndmask_b32_e64 v3, v3, 0xffffff82, vcc_lo
	v_add3_u32 v119, v62, v3, v64
	v_and_b32_e32 v3, 0x1fffff, v118
                                        ; implicit-def: $vgpr118
	s_delay_alu instid0(VALU_DEP_1) | instskip(NEXT) | instid1(VALU_DEP_1)
	v_dual_add_nc_u32 v41, 14, v119 :: v_dual_add_nc_u32 v64, v3, v2
                                        ; implicit-def: $vgpr2_vgpr3
	v_cmpx_ne_u32_e32 0, v41
	s_xor_b32 s7, exec_lo, s7
; %bb.1381:                             ;   in Loop: Header=BB4_979 Depth=2
	s_delay_alu instid0(VALU_DEP_2) | instskip(SKIP_1) | instid1(VALU_DEP_1)
	v_cmp_lt_u64_e32 vcc_lo, 0xffffff, v[64:65]
	v_add_nc_u32_e32 v2, 15, v119
	v_cndmask_b32_e32 v118, v41, v2, vcc_lo
	v_cndmask_b32_e64 v2, 0, 1, vcc_lo
	s_delay_alu instid0(VALU_DEP_1)
	v_lshrrev_b64 v[2:3], v2, v[64:65]
; %bb.1382:                             ;   in Loop: Header=BB4_979 Depth=2
	s_and_not1_saveexec_b32 s7, s7
; %bb.1383:                             ;   in Loop: Header=BB4_979 Depth=2
	v_mov_b64_e32 v[2:3], v[64:65]
	v_bfe_u32 v118, v64, 23, 1
; %bb.1384:                             ;   in Loop: Header=BB4_979 Depth=2
	s_or_b32 exec_lo, exec_lo, s7
	s_delay_alu instid0(VALU_DEP_2) | instskip(NEXT) | instid1(VALU_DEP_2)
	v_lshrrev_b64 v[2:3], 21, v[2:3]
	v_cmp_gt_i32_e32 vcc_lo, 32, v118
	v_min_i32_e32 v64, 31, v118
	v_cmp_eq_u32_e64 s7, 0, v118
	s_delay_alu instid0(VALU_DEP_2) | instskip(SKIP_1) | instid1(VALU_DEP_2)
	v_dual_cndmask_b32 v3, 0, v3 :: v_dual_lshlrev_b32 v64, 2, v64
	v_cndmask_b32_e32 v2, 3, v2, vcc_lo
	v_and_b32_e32 v64, 0xfc, v64
	s_delay_alu instid0(VALU_DEP_2) | instskip(NEXT) | instid1(VALU_DEP_2)
	v_cmp_eq_u64_e32 vcc_lo, 0, v[2:3]
	v_and_or_b32 v2, v2, 3, v64
	s_and_b32 s7, s7, vcc_lo
	s_delay_alu instid0(VALU_DEP_1) | instid1(SALU_CYCLE_1)
	v_cndmask_b32_e64 v2, v2, 0, s7
	s_delay_alu instid0(VALU_DEP_1)
	v_or_b32_e32 v41, v2, v30
.LBB4_1385:                             ;   in Loop: Header=BB4_979 Depth=2
	s_or_b32 exec_lo, exec_lo, s21
                                        ; implicit-def: $vgpr30
.LBB4_1386:                             ;   in Loop: Header=BB4_979 Depth=2
	s_and_not1_saveexec_b32 s7, s20
; %bb.1387:                             ;   in Loop: Header=BB4_979 Depth=2
	v_or_b32_e32 v41, 0x7b, v30
; %bb.1388:                             ;   in Loop: Header=BB4_979 Depth=2
	s_or_b32 exec_lo, exec_lo, s7
                                        ; implicit-def: $vgpr2
                                        ; implicit-def: $vgpr3
.LBB4_1389:                             ;   in Loop: Header=BB4_979 Depth=2
	s_and_not1_saveexec_b32 s7, s19
	s_cbranch_execz .LBB4_1395
; %bb.1390:                             ;   in Loop: Header=BB4_979 Depth=2
	s_mov_b32 s19, exec_lo
                                        ; implicit-def: $vgpr41
	v_cmpx_ne_u64_e32 0, v[64:65]
	s_xor_b32 s19, exec_lo, s19
; %bb.1391:                             ;   in Loop: Header=BB4_979 Depth=2
	v_or_b32_e32 v41, 0x7f, v3
                                        ; implicit-def: $vgpr2
; %bb.1392:                             ;   in Loop: Header=BB4_979 Depth=2
	s_and_not1_saveexec_b32 s19, s19
; %bb.1393:                             ;   in Loop: Header=BB4_979 Depth=2
	v_cmp_lt_i32_e32 vcc_lo, -1, v2
	v_cndmask_b32_e32 v41, 0xfc, v59, vcc_lo
; %bb.1394:                             ;   in Loop: Header=BB4_979 Depth=2
	s_or_b32 exec_lo, exec_lo, s19
.LBB4_1395:                             ;   in Loop: Header=BB4_979 Depth=2
	s_delay_alu instid0(SALU_CYCLE_1) | instskip(SKIP_2) | instid1(VALU_DEP_2)
	s_or_b32 exec_lo, exec_lo, s7
	v_and_b32_e32 v3, 0xff, v4
	v_mov_b32_e32 v2, 0
	v_cmp_ne_u16_e32 vcc_lo, 0, v3
	v_mov_b32_e32 v3, 0
	s_and_saveexec_b32 s7, vcc_lo
	s_cbranch_execz .LBB4_1405
; %bb.1396:                             ;   in Loop: Header=BB4_979 Depth=2
	v_bfe_i32 v64, v4, 0, 8
	v_bfrev_b32_e32 v3, 1
	s_mov_b32 s19, exec_lo
	s_delay_alu instid0(VALU_DEP_2)
	v_cmpx_ne_u16_e32 0xff80, v64
	s_cbranch_execz .LBB4_1404
; %bb.1397:                             ;   in Loop: Header=BB4_979 Depth=2
	v_and_b32_e32 v3, 0x7c, v4
	v_and_b32_e32 v30, 3, v4
	s_delay_alu instid0(VALU_DEP_2) | instskip(SKIP_1) | instid1(SALU_CYCLE_1)
	v_cmp_ne_u32_e32 vcc_lo, 0x7c, v3
                                        ; implicit-def: $vgpr3
	s_and_saveexec_b32 s20, vcc_lo
	s_xor_b32 s20, exec_lo, s20
	s_cbranch_execz .LBB4_1401
; %bb.1398:                             ;   in Loop: Header=BB4_979 Depth=2
	v_bfe_u32 v3, v4, 2, 5
	s_mov_b32 s21, exec_lo
	s_delay_alu instid0(VALU_DEP_1)
	v_cmpx_eq_u32_e32 0, v3
; %bb.1399:                             ;   in Loop: Header=BB4_979 Depth=2
	v_clz_i32_u32_e32 v3, v30
	s_delay_alu instid0(VALU_DEP_1) | instskip(NEXT) | instid1(VALU_DEP_1)
	v_min_u32_e32 v3, 32, v3
	v_subrev_nc_u32_e32 v30, 29, v3
	s_delay_alu instid0(VALU_DEP_1) | instskip(NEXT) | instid1(VALU_DEP_1)
	v_lshlrev_b64_e32 v[118:119], v30, v[4:5]
	v_dual_sub_nc_u32 v3, 30, v3 :: v_dual_bitop2_b32 v30, 3, v118 bitop3:0x40
; %bb.1400:                             ;   in Loop: Header=BB4_979 Depth=2
	s_or_b32 exec_lo, exec_lo, s21
	v_lshlrev_b32_e32 v5, 24, v4
                                        ; implicit-def: $vgpr64
	s_delay_alu instid0(VALU_DEP_1) | instskip(NEXT) | instid1(VALU_DEP_1)
	v_and_b32_e32 v5, 0x80000000, v5
	v_lshl_add_u32 v3, v3, 23, v5
	s_delay_alu instid0(VALU_DEP_1) | instskip(NEXT) | instid1(VALU_DEP_1)
	v_lshl_or_b32 v3, v30, 21, v3
                                        ; implicit-def: $vgpr30
	v_add_nc_u32_e32 v3, 0x38000000, v3
.LBB4_1401:                             ;   in Loop: Header=BB4_979 Depth=2
	s_and_not1_saveexec_b32 s20, s20
; %bb.1402:                             ;   in Loop: Header=BB4_979 Depth=2
	v_cmp_lt_i16_e32 vcc_lo, -1, v64
	v_cndmask_b32_e32 v3, 0xff800000, v21, vcc_lo
	v_cmp_eq_u32_e32 vcc_lo, 0, v30
	s_delay_alu instid0(VALU_DEP_2)
	v_cndmask_b32_e32 v3, 0x7f800001, v3, vcc_lo
; %bb.1403:                             ;   in Loop: Header=BB4_979 Depth=2
	s_or_b32 exec_lo, exec_lo, s20
.LBB4_1404:                             ;   in Loop: Header=BB4_979 Depth=2
	s_delay_alu instid0(SALU_CYCLE_1)
	s_or_b32 exec_lo, exec_lo, s19
.LBB4_1405:                             ;   in Loop: Header=BB4_979 Depth=2
	s_delay_alu instid0(SALU_CYCLE_1) | instskip(SKIP_3) | instid1(VALU_DEP_1)
	s_or_b32 exec_lo, exec_lo, s7
	v_dual_lshlrev_b32 v30, 24, v47 :: v_dual_lshlrev_b32 v64, 16, v46
	v_lshl_or_b32 v5, v45, 8, v43
	s_mov_b32 s7, exec_lo
	v_or3_b32 v64, v64, v30, v5
	v_cmpx_ne_u32_e32 0, v43
	s_cbranch_execz .LBB4_1415
; %bb.1406:                             ;   in Loop: Header=BB4_979 Depth=2
	v_bfrev_b32_e32 v2, 1
	s_mov_b32 s19, exec_lo
	v_cmpx_ne_u32_e32 0x80, v43
	s_cbranch_execz .LBB4_1414
; %bb.1407:                             ;   in Loop: Header=BB4_979 Depth=2
	v_and_b32_e32 v2, 0x7c, v43
	v_and_b32_e32 v30, 3, v43
	s_delay_alu instid0(VALU_DEP_2) | instskip(SKIP_1) | instid1(SALU_CYCLE_1)
	v_cmp_ne_u32_e32 vcc_lo, 0x7c, v2
                                        ; implicit-def: $vgpr2
	s_and_saveexec_b32 s20, vcc_lo
	s_xor_b32 s20, exec_lo, s20
	s_cbranch_execz .LBB4_1411
; %bb.1408:                             ;   in Loop: Header=BB4_979 Depth=2
	v_bfe_u32 v2, v43, 2, 5
	s_mov_b32 s21, exec_lo
	s_delay_alu instid0(VALU_DEP_1)
	v_cmpx_eq_u32_e32 0, v2
; %bb.1409:                             ;   in Loop: Header=BB4_979 Depth=2
	v_clz_i32_u32_e32 v2, v30
	s_delay_alu instid0(VALU_DEP_1) | instskip(NEXT) | instid1(VALU_DEP_1)
	v_min_u32_e32 v2, 32, v2
	v_subrev_nc_u32_e32 v30, 29, v2
	v_sub_nc_u32_e32 v2, 30, v2
	s_delay_alu instid0(VALU_DEP_2) | instskip(NEXT) | instid1(VALU_DEP_1)
	v_lshlrev_b64_e32 v[118:119], v30, v[64:65]
	v_and_b32_e32 v30, 3, v118
; %bb.1410:                             ;   in Loop: Header=BB4_979 Depth=2
	s_or_b32 exec_lo, exec_lo, s21
	v_lshlrev_b32_e32 v118, 24, v43
                                        ; implicit-def: $vgpr43
	s_delay_alu instid0(VALU_DEP_1) | instskip(NEXT) | instid1(VALU_DEP_1)
	v_and_b32_e32 v118, 0x80000000, v118
	v_lshl_add_u32 v2, v2, 23, v118
	s_delay_alu instid0(VALU_DEP_1) | instskip(NEXT) | instid1(VALU_DEP_1)
	v_lshl_or_b32 v2, v30, 21, v2
                                        ; implicit-def: $vgpr30
	v_add_nc_u32_e32 v2, 0x38000000, v2
.LBB4_1411:                             ;   in Loop: Header=BB4_979 Depth=2
	s_and_not1_saveexec_b32 s20, s20
; %bb.1412:                             ;   in Loop: Header=BB4_979 Depth=2
	v_and_b32_e32 v2, 0x80, v43
	s_delay_alu instid0(VALU_DEP_1) | instskip(SKIP_2) | instid1(VALU_DEP_2)
	v_cmp_eq_u32_e32 vcc_lo, 0, v2
	v_cndmask_b32_e32 v2, 0xff800000, v21, vcc_lo
	v_cmp_eq_u32_e32 vcc_lo, 0, v30
	v_cndmask_b32_e32 v2, 0x7f800001, v2, vcc_lo
; %bb.1413:                             ;   in Loop: Header=BB4_979 Depth=2
	s_or_b32 exec_lo, exec_lo, s20
.LBB4_1414:                             ;   in Loop: Header=BB4_979 Depth=2
	s_delay_alu instid0(SALU_CYCLE_1)
	s_or_b32 exec_lo, exec_lo, s19
.LBB4_1415:                             ;   in Loop: Header=BB4_979 Depth=2
	s_delay_alu instid0(SALU_CYCLE_1) | instskip(NEXT) | instid1(VALU_DEP_1)
	s_or_b32 exec_lo, exec_lo, s7
	v_dual_add_f32 v118, v3, v2 :: v_dual_mov_b32 v47, v65
	v_mov_b32_e32 v3, v65
                                        ; implicit-def: $vgpr43
	s_mov_b32 s7, exec_lo
	s_delay_alu instid0(VALU_DEP_2) | instskip(SKIP_2) | instid1(VALU_DEP_3)
	v_and_b32_e32 v46, 0x7f800000, v118
	v_and_b32_e32 v2, 0x7fffff, v118
	v_lshrrev_b32_e32 v30, 24, v118
	v_cmpx_ne_u64_e32 0x7f800000, v[46:47]
	s_xor_b32 s19, exec_lo, s7
	s_cbranch_execz .LBB4_1429
; %bb.1416:                             ;   in Loop: Header=BB4_979 Depth=2
	v_and_b32_e32 v46, 0x7fffffff, v118
	v_mov_b32_e32 v47, v65
	v_and_b32_e32 v30, 0x80, v30
                                        ; implicit-def: $vgpr43
	s_mov_b32 s7, exec_lo
	s_delay_alu instid0(VALU_DEP_2)
	v_cmpx_gt_u64_e32 0x47600001, v[46:47]
	s_xor_b32 s20, exec_lo, s7
	s_cbranch_execz .LBB4_1426
; %bb.1417:                             ;   in Loop: Header=BB4_979 Depth=2
	v_mov_b32_e32 v43, 0
	s_mov_b32 s21, exec_lo
	v_cmpx_ne_u32_e32 0, v118
	s_cbranch_execz .LBB4_1425
; %bb.1418:                             ;   in Loop: Header=BB4_979 Depth=2
	v_bfe_u32 v43, v118, 23, 8
	v_or_b32_e32 v46, 0x800000, v2
	s_delay_alu instid0(VALU_DEP_2) | instskip(SKIP_1) | instid1(VALU_DEP_2)
	v_sub_nc_u32_e32 v118, 0x71, v43
	v_cmp_gt_u32_e32 vcc_lo, 0x72, v43
	v_cndmask_b32_e32 v118, 0, v118, vcc_lo
	v_cmp_eq_u32_e32 vcc_lo, 0, v43
	s_delay_alu instid0(VALU_DEP_2) | instskip(NEXT) | instid1(VALU_DEP_1)
	v_cndmask_b32_e64 v45, v118, 0x70, vcc_lo
	v_dual_cndmask_b32 v2, v46, v2, vcc_lo :: v_dual_add_nc_u32 v118, 21, v45
	v_add_nc_u32_e32 v47, 20, v45
	s_delay_alu instid0(VALU_DEP_2) | instskip(NEXT) | instid1(VALU_DEP_2)
	v_lshlrev_b64_e64 v[118:119], v118, -1
	v_lshlrev_b64_e64 v[46:47], v47, 1
	s_delay_alu instid0(VALU_DEP_2) | instskip(SKIP_1) | instid1(VALU_DEP_4)
	v_bfi_b32 v118, v118, 0, v2
	v_lshrrev_b64 v[2:3], v45, v[2:3]
	v_bfi_b32 v119, v119, 0, 0
	s_delay_alu instid0(VALU_DEP_1) | instskip(NEXT) | instid1(VALU_DEP_3)
	v_cmp_eq_u64_e64 s7, v[118:119], v[46:47]
	v_mov_b64_e32 v[118:119], v[2:3]
	s_and_saveexec_b32 s22, s7
; %bb.1419:                             ;   in Loop: Header=BB4_979 Depth=2
	v_bfe_u32 v118, v2, 21, 1
	v_mov_b32_e32 v119, v65
	s_delay_alu instid0(VALU_DEP_1) | instskip(NEXT) | instid1(VALU_DEP_1)
	v_add_nc_u64_e32 v[118:119], v[2:3], v[118:119]
	v_add_nc_u64_e32 v[118:119], -1, v[118:119]
; %bb.1420:                             ;   in Loop: Header=BB4_979 Depth=2
	s_or_b32 exec_lo, exec_lo, s22
	v_add_nc_u32_e32 v3, 0xffffff81, v43
	v_lshrrev_b32_e32 v119, 23, v2
	s_mov_b32 s7, exec_lo
	s_delay_alu instid0(VALU_DEP_2) | instskip(NEXT) | instid1(VALU_DEP_1)
	v_cndmask_b32_e64 v3, v3, 0xffffff82, vcc_lo
	v_add3_u32 v119, v45, v3, v119
	v_and_b32_e32 v3, 0x1fffff, v118
                                        ; implicit-def: $vgpr118
	s_delay_alu instid0(VALU_DEP_1) | instskip(SKIP_1) | instid1(VALU_DEP_2)
	v_dual_add_nc_u32 v43, 14, v119 :: v_dual_add_nc_u32 v2, v3, v2
	v_mov_b32_e32 v3, v65
	v_cmpx_ne_u32_e32 0, v43
	s_xor_b32 s7, exec_lo, s7
; %bb.1421:                             ;   in Loop: Header=BB4_979 Depth=2
	s_delay_alu instid0(VALU_DEP_2) | instskip(SKIP_2) | instid1(VALU_DEP_2)
	v_cmp_lt_u64_e32 vcc_lo, 0xffffff, v[2:3]
	v_add_nc_u32_e32 v118, 15, v119
	v_cndmask_b32_e64 v119, 0, 1, vcc_lo
	v_cndmask_b32_e32 v118, v43, v118, vcc_lo
	s_delay_alu instid0(VALU_DEP_2)
	v_lshrrev_b64 v[2:3], v119, v[2:3]
; %bb.1422:                             ;   in Loop: Header=BB4_979 Depth=2
	s_and_not1_saveexec_b32 s7, s7
; %bb.1423:                             ;   in Loop: Header=BB4_979 Depth=2
	s_delay_alu instid0(VALU_DEP_1)
	v_bfe_u32 v118, v2, 23, 1
; %bb.1424:                             ;   in Loop: Header=BB4_979 Depth=2
	s_or_b32 exec_lo, exec_lo, s7
	s_delay_alu instid0(VALU_DEP_2) | instskip(NEXT) | instid1(VALU_DEP_2)
	v_lshrrev_b64 v[2:3], 21, v[2:3]
	v_cmp_gt_i32_e32 vcc_lo, 32, v118
	v_min_i32_e32 v119, 31, v118
	v_cmp_eq_u32_e64 s7, 0, v118
	s_delay_alu instid0(VALU_DEP_4) | instskip(NEXT) | instid1(VALU_DEP_3)
	v_cndmask_b32_e32 v3, 0, v3, vcc_lo
	v_dual_cndmask_b32 v2, 3, v2 :: v_dual_lshlrev_b32 v119, 2, v119
	s_delay_alu instid0(VALU_DEP_1) | instskip(NEXT) | instid1(VALU_DEP_2)
	v_and_b32_e32 v119, 0xfc, v119
	v_cmp_eq_u64_e32 vcc_lo, 0, v[2:3]
	s_delay_alu instid0(VALU_DEP_2)
	v_and_or_b32 v2, v2, 3, v119
	s_and_b32 s7, s7, vcc_lo
	s_delay_alu instid0(VALU_DEP_1) | instid1(SALU_CYCLE_1)
	v_cndmask_b32_e64 v2, v2, 0, s7
	s_delay_alu instid0(VALU_DEP_1)
	v_or_b32_e32 v43, v2, v30
.LBB4_1425:                             ;   in Loop: Header=BB4_979 Depth=2
	s_or_b32 exec_lo, exec_lo, s21
                                        ; implicit-def: $vgpr30
.LBB4_1426:                             ;   in Loop: Header=BB4_979 Depth=2
	s_and_not1_saveexec_b32 s7, s20
; %bb.1427:                             ;   in Loop: Header=BB4_979 Depth=2
	v_or_b32_e32 v43, 0x7b, v30
; %bb.1428:                             ;   in Loop: Header=BB4_979 Depth=2
	s_or_b32 exec_lo, exec_lo, s7
                                        ; implicit-def: $vgpr118
                                        ; implicit-def: $vgpr2_vgpr3
                                        ; implicit-def: $vgpr30
.LBB4_1429:                             ;   in Loop: Header=BB4_979 Depth=2
	s_and_not1_saveexec_b32 s7, s19
	s_cbranch_execz .LBB4_1435
; %bb.1430:                             ;   in Loop: Header=BB4_979 Depth=2
	s_mov_b32 s19, exec_lo
                                        ; implicit-def: $vgpr43
	v_cmpx_ne_u64_e32 0, v[2:3]
	s_xor_b32 s19, exec_lo, s19
; %bb.1431:                             ;   in Loop: Header=BB4_979 Depth=2
	v_or_b32_e32 v43, 0x7f, v30
                                        ; implicit-def: $vgpr118
; %bb.1432:                             ;   in Loop: Header=BB4_979 Depth=2
	s_and_not1_saveexec_b32 s19, s19
; %bb.1433:                             ;   in Loop: Header=BB4_979 Depth=2
	v_cmp_lt_i32_e32 vcc_lo, -1, v118
	v_cndmask_b32_e32 v43, 0xfc, v59, vcc_lo
; %bb.1434:                             ;   in Loop: Header=BB4_979 Depth=2
	s_or_b32 exec_lo, exec_lo, s19
.LBB4_1435:                             ;   in Loop: Header=BB4_979 Depth=2
	s_delay_alu instid0(SALU_CYCLE_1) | instskip(SKIP_3) | instid1(VALU_DEP_2)
	s_or_b32 exec_lo, exec_lo, s7
	v_lshrrev_b16 v2, 8, v4
	v_dual_mov_b32 v30, 0 :: v_dual_mov_b32 v118, 0
	s_mov_b32 s7, exec_lo
	v_cmpx_ne_u16_e32 0, v2
	s_cbranch_execz .LBB4_1445
; %bb.1436:                             ;   in Loop: Header=BB4_979 Depth=2
	v_bfrev_b32_e32 v118, 1
	s_mov_b32 s19, exec_lo
	v_cmpx_ne_u16_e32 0x80, v2
	s_cbranch_execz .LBB4_1444
; %bb.1437:                             ;   in Loop: Header=BB4_979 Depth=2
	v_and_b32_e32 v119, 0xffff, v2
	s_delay_alu instid0(VALU_DEP_1) | instskip(SKIP_1) | instid1(VALU_DEP_2)
	v_and_b32_e32 v118, 0x7c, v119
	v_and_b32_e32 v3, 3, v119
	v_cmp_ne_u32_e32 vcc_lo, 0x7c, v118
                                        ; implicit-def: $vgpr118
	s_and_saveexec_b32 s20, vcc_lo
	s_delay_alu instid0(SALU_CYCLE_1)
	s_xor_b32 s20, exec_lo, s20
	s_cbranch_execz .LBB4_1441
; %bb.1438:                             ;   in Loop: Header=BB4_979 Depth=2
	v_bfe_u32 v118, v119, 2, 5
	s_mov_b32 s21, exec_lo
	s_delay_alu instid0(VALU_DEP_1)
	v_cmpx_eq_u32_e32 0, v118
	s_cbranch_execz .LBB4_1440
; %bb.1439:                             ;   in Loop: Header=BB4_979 Depth=2
	v_clz_i32_u32_e32 v3, v3
	s_delay_alu instid0(VALU_DEP_1) | instskip(SKIP_1) | instid1(VALU_DEP_2)
	v_min_u32_e32 v118, 32, v3
	v_mov_b32_e32 v3, v65
	v_subrev_nc_u32_e32 v119, 29, v118
	v_sub_nc_u32_e32 v118, 30, v118
	s_delay_alu instid0(VALU_DEP_2) | instskip(NEXT) | instid1(VALU_DEP_1)
	v_lshlrev_b64_e32 v[2:3], v119, v[2:3]
	v_and_b32_e32 v3, 3, v2
.LBB4_1440:                             ;   in Loop: Header=BB4_979 Depth=2
	s_or_b32 exec_lo, exec_lo, s21
	v_lshlrev_b32_e32 v2, 16, v4
	s_delay_alu instid0(VALU_DEP_1) | instskip(NEXT) | instid1(VALU_DEP_1)
	v_and_b32_e32 v2, 0x80000000, v2
	v_lshl_add_u32 v2, v118, 23, v2
	s_delay_alu instid0(VALU_DEP_1) | instskip(NEXT) | instid1(VALU_DEP_1)
	v_lshl_or_b32 v2, v3, 21, v2
                                        ; implicit-def: $vgpr3
	v_add_nc_u32_e32 v118, 0x38000000, v2
.LBB4_1441:                             ;   in Loop: Header=BB4_979 Depth=2
	s_and_not1_saveexec_b32 s20, s20
; %bb.1442:                             ;   in Loop: Header=BB4_979 Depth=2
	v_cmp_lt_i16_e32 vcc_lo, -1, v4
	v_cndmask_b32_e32 v2, 0xff800000, v21, vcc_lo
	v_cmp_eq_u32_e32 vcc_lo, 0, v3
	s_delay_alu instid0(VALU_DEP_2)
	v_cndmask_b32_e32 v118, 0x7f800001, v2, vcc_lo
; %bb.1443:                             ;   in Loop: Header=BB4_979 Depth=2
	s_or_b32 exec_lo, exec_lo, s20
.LBB4_1444:                             ;   in Loop: Header=BB4_979 Depth=2
	s_delay_alu instid0(SALU_CYCLE_1)
	s_or_b32 exec_lo, exec_lo, s19
.LBB4_1445:                             ;   in Loop: Header=BB4_979 Depth=2
	s_delay_alu instid0(SALU_CYCLE_1) | instskip(SKIP_2) | instid1(VALU_DEP_1)
	s_or_b32 exec_lo, exec_lo, s7
	v_lshrrev_b16 v2, 8, v5
	s_mov_b32 s7, exec_lo
	v_cmpx_ne_u16_e32 0, v2
	s_cbranch_execz .LBB4_1455
; %bb.1446:                             ;   in Loop: Header=BB4_979 Depth=2
	v_bfrev_b32_e32 v30, 1
	s_mov_b32 s19, exec_lo
	v_cmpx_ne_u16_e32 0x80, v2
	s_cbranch_execz .LBB4_1454
; %bb.1447:                             ;   in Loop: Header=BB4_979 Depth=2
	v_and_b32_e32 v119, 0xffff, v2
	s_delay_alu instid0(VALU_DEP_1) | instskip(SKIP_1) | instid1(VALU_DEP_2)
	v_and_b32_e32 v30, 0x7c, v119
	v_and_b32_e32 v3, 3, v119
	v_cmp_ne_u32_e32 vcc_lo, 0x7c, v30
                                        ; implicit-def: $vgpr30
	s_and_saveexec_b32 s20, vcc_lo
	s_delay_alu instid0(SALU_CYCLE_1)
	s_xor_b32 s20, exec_lo, s20
	s_cbranch_execz .LBB4_1451
; %bb.1448:                             ;   in Loop: Header=BB4_979 Depth=2
	v_bfe_u32 v30, v119, 2, 5
	s_mov_b32 s21, exec_lo
	s_delay_alu instid0(VALU_DEP_1)
	v_cmpx_eq_u32_e32 0, v30
	s_cbranch_execz .LBB4_1450
; %bb.1449:                             ;   in Loop: Header=BB4_979 Depth=2
	v_clz_i32_u32_e32 v3, v3
	s_delay_alu instid0(VALU_DEP_1) | instskip(SKIP_1) | instid1(VALU_DEP_2)
	v_min_u32_e32 v30, 32, v3
	v_mov_b32_e32 v3, v65
	v_subrev_nc_u32_e32 v119, 29, v30
	v_sub_nc_u32_e32 v30, 30, v30
	s_delay_alu instid0(VALU_DEP_2) | instskip(NEXT) | instid1(VALU_DEP_1)
	v_lshlrev_b64_e32 v[2:3], v119, v[2:3]
	v_and_b32_e32 v3, 3, v2
.LBB4_1450:                             ;   in Loop: Header=BB4_979 Depth=2
	s_or_b32 exec_lo, exec_lo, s21
	v_lshlrev_b32_e32 v2, 16, v5
                                        ; implicit-def: $vgpr5
	s_delay_alu instid0(VALU_DEP_1) | instskip(NEXT) | instid1(VALU_DEP_1)
	v_and_b32_e32 v2, 0x80000000, v2
	v_lshl_add_u32 v2, v30, 23, v2
	s_delay_alu instid0(VALU_DEP_1) | instskip(NEXT) | instid1(VALU_DEP_1)
	v_lshl_or_b32 v2, v3, 21, v2
                                        ; implicit-def: $vgpr3
	v_add_nc_u32_e32 v30, 0x38000000, v2
.LBB4_1451:                             ;   in Loop: Header=BB4_979 Depth=2
	s_and_not1_saveexec_b32 s20, s20
; %bb.1452:                             ;   in Loop: Header=BB4_979 Depth=2
	v_cmp_lt_i16_e32 vcc_lo, -1, v5
	v_cndmask_b32_e32 v2, 0xff800000, v21, vcc_lo
	v_cmp_eq_u32_e32 vcc_lo, 0, v3
	s_delay_alu instid0(VALU_DEP_2)
	v_cndmask_b32_e32 v30, 0x7f800001, v2, vcc_lo
; %bb.1453:                             ;   in Loop: Header=BB4_979 Depth=2
	s_or_b32 exec_lo, exec_lo, s20
.LBB4_1454:                             ;   in Loop: Header=BB4_979 Depth=2
	s_delay_alu instid0(SALU_CYCLE_1)
	s_or_b32 exec_lo, exec_lo, s19
.LBB4_1455:                             ;   in Loop: Header=BB4_979 Depth=2
	s_delay_alu instid0(SALU_CYCLE_1) | instskip(NEXT) | instid1(VALU_DEP_1)
	s_or_b32 exec_lo, exec_lo, s7
	v_dual_add_f32 v30, v118, v30 :: v_dual_mov_b32 v119, v65
	v_mov_b32_e32 v3, v65
                                        ; implicit-def: $vgpr45
	s_mov_b32 s7, exec_lo
	s_delay_alu instid0(VALU_DEP_2) | instskip(SKIP_2) | instid1(VALU_DEP_3)
	v_and_b32_e32 v118, 0x7f800000, v30
	v_and_b32_e32 v2, 0x7fffff, v30
	v_lshrrev_b32_e32 v5, 24, v30
	v_cmpx_ne_u64_e32 0x7f800000, v[118:119]
	s_xor_b32 s19, exec_lo, s7
	s_cbranch_execz .LBB4_1469
; %bb.1456:                             ;   in Loop: Header=BB4_979 Depth=2
	v_and_b32_e32 v118, 0x7fffffff, v30
	v_mov_b32_e32 v119, v65
	v_and_b32_e32 v5, 0x80, v5
                                        ; implicit-def: $vgpr45
	s_mov_b32 s7, exec_lo
	s_delay_alu instid0(VALU_DEP_2)
	v_cmpx_gt_u64_e32 0x47600001, v[118:119]
	s_xor_b32 s20, exec_lo, s7
	s_cbranch_execz .LBB4_1466
; %bb.1457:                             ;   in Loop: Header=BB4_979 Depth=2
	v_mov_b32_e32 v45, 0
	s_mov_b32 s21, exec_lo
	v_cmpx_ne_u32_e32 0, v30
	s_cbranch_execz .LBB4_1465
; %bb.1458:                             ;   in Loop: Header=BB4_979 Depth=2
	v_bfe_u32 v30, v30, 23, 8
	v_or_b32_e32 v46, 0x800000, v2
	s_delay_alu instid0(VALU_DEP_2) | instskip(SKIP_1) | instid1(VALU_DEP_2)
	v_sub_nc_u32_e32 v118, 0x71, v30
	v_cmp_gt_u32_e32 vcc_lo, 0x72, v30
	v_cndmask_b32_e32 v118, 0, v118, vcc_lo
	v_cmp_eq_u32_e32 vcc_lo, 0, v30
	s_delay_alu instid0(VALU_DEP_2) | instskip(NEXT) | instid1(VALU_DEP_1)
	v_cndmask_b32_e64 v45, v118, 0x70, vcc_lo
	v_dual_cndmask_b32 v2, v46, v2, vcc_lo :: v_dual_add_nc_u32 v118, 21, v45
	v_add_nc_u32_e32 v47, 20, v45
	s_delay_alu instid0(VALU_DEP_2) | instskip(NEXT) | instid1(VALU_DEP_2)
	v_lshlrev_b64_e64 v[118:119], v118, -1
	v_lshlrev_b64_e64 v[46:47], v47, 1
	s_delay_alu instid0(VALU_DEP_2) | instskip(SKIP_1) | instid1(VALU_DEP_4)
	v_bfi_b32 v118, v118, 0, v2
	v_lshrrev_b64 v[2:3], v45, v[2:3]
	v_bfi_b32 v119, v119, 0, 0
	s_delay_alu instid0(VALU_DEP_1) | instskip(NEXT) | instid1(VALU_DEP_3)
	v_cmp_eq_u64_e64 s7, v[118:119], v[46:47]
	v_mov_b64_e32 v[118:119], v[2:3]
	s_and_saveexec_b32 s22, s7
; %bb.1459:                             ;   in Loop: Header=BB4_979 Depth=2
	v_bfe_u32 v118, v2, 21, 1
	v_mov_b32_e32 v119, v65
	s_delay_alu instid0(VALU_DEP_1) | instskip(NEXT) | instid1(VALU_DEP_1)
	v_add_nc_u64_e32 v[118:119], v[2:3], v[118:119]
	v_add_nc_u64_e32 v[118:119], -1, v[118:119]
; %bb.1460:                             ;   in Loop: Header=BB4_979 Depth=2
	s_or_b32 exec_lo, exec_lo, s22
	v_add_nc_u32_e32 v3, 0xffffff81, v30
	v_lshrrev_b32_e32 v30, 23, v2
	s_mov_b32 s7, exec_lo
	s_delay_alu instid0(VALU_DEP_2) | instskip(NEXT) | instid1(VALU_DEP_1)
	v_cndmask_b32_e64 v3, v3, 0xffffff82, vcc_lo
	v_add3_u32 v119, v45, v3, v30
	v_and_b32_e32 v3, 0x1fffff, v118
                                        ; implicit-def: $vgpr30
	s_delay_alu instid0(VALU_DEP_1) | instskip(SKIP_1) | instid1(VALU_DEP_2)
	v_dual_add_nc_u32 v118, 14, v119 :: v_dual_add_nc_u32 v2, v3, v2
	v_mov_b32_e32 v3, v65
	v_cmpx_ne_u32_e32 0, v118
	s_xor_b32 s7, exec_lo, s7
; %bb.1461:                             ;   in Loop: Header=BB4_979 Depth=2
	s_delay_alu instid0(VALU_DEP_2) | instskip(SKIP_1) | instid1(VALU_DEP_1)
	v_cmp_lt_u64_e32 vcc_lo, 0xffffff, v[2:3]
	v_add_nc_u32_e32 v30, 15, v119
	v_cndmask_b32_e32 v30, v118, v30, vcc_lo
	v_cndmask_b32_e64 v118, 0, 1, vcc_lo
	s_delay_alu instid0(VALU_DEP_1)
	v_lshrrev_b64 v[2:3], v118, v[2:3]
; %bb.1462:                             ;   in Loop: Header=BB4_979 Depth=2
	s_and_not1_saveexec_b32 s7, s7
; %bb.1463:                             ;   in Loop: Header=BB4_979 Depth=2
	s_delay_alu instid0(VALU_DEP_1)
	v_bfe_u32 v30, v2, 23, 1
; %bb.1464:                             ;   in Loop: Header=BB4_979 Depth=2
	s_or_b32 exec_lo, exec_lo, s7
	s_delay_alu instid0(VALU_DEP_2) | instskip(NEXT) | instid1(VALU_DEP_2)
	v_lshrrev_b64 v[2:3], 21, v[2:3]
	v_cmp_gt_i32_e32 vcc_lo, 32, v30
	v_min_i32_e32 v118, 31, v30
	v_cmp_eq_u32_e64 s7, 0, v30
	s_delay_alu instid0(VALU_DEP_2) | instskip(SKIP_1) | instid1(VALU_DEP_2)
	v_dual_cndmask_b32 v3, 0, v3 :: v_dual_lshlrev_b32 v118, 2, v118
	v_cndmask_b32_e32 v2, 3, v2, vcc_lo
	v_and_b32_e32 v118, 0xfc, v118
	s_delay_alu instid0(VALU_DEP_2) | instskip(NEXT) | instid1(VALU_DEP_2)
	v_cmp_eq_u64_e32 vcc_lo, 0, v[2:3]
	v_and_or_b32 v2, v2, 3, v118
	s_and_b32 s7, s7, vcc_lo
	s_delay_alu instid0(VALU_DEP_1) | instid1(SALU_CYCLE_1)
	v_cndmask_b32_e64 v2, v2, 0, s7
	s_delay_alu instid0(VALU_DEP_1)
	v_or_b32_e32 v45, v2, v5
.LBB4_1465:                             ;   in Loop: Header=BB4_979 Depth=2
	s_or_b32 exec_lo, exec_lo, s21
                                        ; implicit-def: $vgpr5
.LBB4_1466:                             ;   in Loop: Header=BB4_979 Depth=2
	s_and_not1_saveexec_b32 s7, s20
; %bb.1467:                             ;   in Loop: Header=BB4_979 Depth=2
	v_or_b32_e32 v45, 0x7b, v5
; %bb.1468:                             ;   in Loop: Header=BB4_979 Depth=2
	s_or_b32 exec_lo, exec_lo, s7
                                        ; implicit-def: $vgpr30
                                        ; implicit-def: $vgpr2_vgpr3
                                        ; implicit-def: $vgpr5
.LBB4_1469:                             ;   in Loop: Header=BB4_979 Depth=2
	s_and_not1_saveexec_b32 s7, s19
	s_cbranch_execz .LBB4_1475
; %bb.1470:                             ;   in Loop: Header=BB4_979 Depth=2
	s_mov_b32 s19, exec_lo
                                        ; implicit-def: $vgpr45
	v_cmpx_ne_u64_e32 0, v[2:3]
	s_xor_b32 s19, exec_lo, s19
; %bb.1471:                             ;   in Loop: Header=BB4_979 Depth=2
	v_or_b32_e32 v45, 0x7f, v5
                                        ; implicit-def: $vgpr30
; %bb.1472:                             ;   in Loop: Header=BB4_979 Depth=2
	s_and_not1_saveexec_b32 s19, s19
; %bb.1473:                             ;   in Loop: Header=BB4_979 Depth=2
	v_cmp_lt_i32_e32 vcc_lo, -1, v30
	v_cndmask_b32_e32 v45, 0xfc, v59, vcc_lo
; %bb.1474:                             ;   in Loop: Header=BB4_979 Depth=2
	s_or_b32 exec_lo, exec_lo, s19
.LBB4_1475:                             ;   in Loop: Header=BB4_979 Depth=2
	s_delay_alu instid0(SALU_CYCLE_1) | instskip(SKIP_3) | instid1(VALU_DEP_2)
	s_or_b32 exec_lo, exec_lo, s7
	v_dual_mov_b32 v3, 0 :: v_dual_lshrrev_b32 v2, 16, v4
	v_mov_b32_e32 v5, 0
	s_mov_b32 s7, exec_lo
	v_and_b32_e32 v30, 0xff, v2
	s_delay_alu instid0(VALU_DEP_1)
	v_cmpx_ne_u16_e32 0, v30
	s_cbranch_execz .LBB4_1485
; %bb.1476:                             ;   in Loop: Header=BB4_979 Depth=2
	v_bfrev_b32_e32 v5, 1
	s_mov_b32 s19, exec_lo
	v_cmpx_ne_u16_e32 0x80, v30
	s_cbranch_execz .LBB4_1484
; %bb.1477:                             ;   in Loop: Header=BB4_979 Depth=2
	v_and_b32_e32 v5, 0x7c0000, v4
	v_bfe_u32 v30, v4, 16, 2
	s_delay_alu instid0(VALU_DEP_2) | instskip(SKIP_1) | instid1(SALU_CYCLE_1)
	v_cmp_ne_u32_e32 vcc_lo, 0x7c0000, v5
                                        ; implicit-def: $vgpr5
	s_and_saveexec_b32 s20, vcc_lo
	s_xor_b32 s20, exec_lo, s20
	s_cbranch_execz .LBB4_1481
; %bb.1478:                             ;   in Loop: Header=BB4_979 Depth=2
	v_bfe_u32 v5, v4, 18, 5
	s_mov_b32 s21, exec_lo
	s_delay_alu instid0(VALU_DEP_1)
	v_cmpx_eq_u32_e32 0, v5
; %bb.1479:                             ;   in Loop: Header=BB4_979 Depth=2
	v_clz_i32_u32_e32 v5, v30
	s_delay_alu instid0(VALU_DEP_1) | instskip(NEXT) | instid1(VALU_DEP_1)
	v_min_u32_e32 v5, 32, v5
	v_subrev_nc_u32_e32 v30, 29, v5
	s_delay_alu instid0(VALU_DEP_1) | instskip(NEXT) | instid1(VALU_DEP_1)
	v_lshlrev_b64_e32 v[118:119], v30, v[2:3]
	v_dual_sub_nc_u32 v5, 30, v5 :: v_dual_bitop2_b32 v30, 3, v118 bitop3:0x40
; %bb.1480:                             ;   in Loop: Header=BB4_979 Depth=2
	s_or_b32 exec_lo, exec_lo, s21
	v_lshlrev_b32_e32 v2, 24, v2
	s_delay_alu instid0(VALU_DEP_1) | instskip(NEXT) | instid1(VALU_DEP_1)
	v_and_b32_e32 v2, 0x80000000, v2
	v_lshl_add_u32 v2, v5, 23, v2
	s_delay_alu instid0(VALU_DEP_1) | instskip(NEXT) | instid1(VALU_DEP_1)
	v_lshl_or_b32 v2, v30, 21, v2
                                        ; implicit-def: $vgpr30
	v_add_nc_u32_e32 v5, 0x38000000, v2
                                        ; implicit-def: $vgpr2
.LBB4_1481:                             ;   in Loop: Header=BB4_979 Depth=2
	s_and_not1_saveexec_b32 s20, s20
; %bb.1482:                             ;   in Loop: Header=BB4_979 Depth=2
	v_bfe_i32 v2, v2, 0, 8
	s_delay_alu instid0(VALU_DEP_1) | instskip(SKIP_2) | instid1(VALU_DEP_2)
	v_cmp_lt_i16_e32 vcc_lo, -1, v2
	v_cndmask_b32_e32 v2, 0xff800000, v21, vcc_lo
	v_cmp_eq_u32_e32 vcc_lo, 0, v30
	v_cndmask_b32_e32 v5, 0x7f800001, v2, vcc_lo
; %bb.1483:                             ;   in Loop: Header=BB4_979 Depth=2
	s_or_b32 exec_lo, exec_lo, s20
.LBB4_1484:                             ;   in Loop: Header=BB4_979 Depth=2
	s_delay_alu instid0(SALU_CYCLE_1)
	s_or_b32 exec_lo, exec_lo, s19
.LBB4_1485:                             ;   in Loop: Header=BB4_979 Depth=2
	s_delay_alu instid0(SALU_CYCLE_1) | instskip(SKIP_2) | instid1(VALU_DEP_1)
	s_or_b32 exec_lo, exec_lo, s7
	v_lshrrev_b32_e32 v2, 16, v64
	s_mov_b32 s7, exec_lo
	v_and_b32_e32 v30, 0xff, v2
	s_delay_alu instid0(VALU_DEP_1)
	v_cmpx_ne_u16_e32 0, v30
	s_cbranch_execz .LBB4_1495
; %bb.1486:                             ;   in Loop: Header=BB4_979 Depth=2
	v_bfrev_b32_e32 v3, 1
	s_mov_b32 s19, exec_lo
	v_cmpx_ne_u16_e32 0x80, v30
	s_cbranch_execz .LBB4_1494
; %bb.1487:                             ;   in Loop: Header=BB4_979 Depth=2
	v_and_b32_e32 v3, 0x7c0000, v64
	v_bfe_u32 v30, v64, 16, 2
	s_delay_alu instid0(VALU_DEP_2) | instskip(SKIP_1) | instid1(SALU_CYCLE_1)
	v_cmp_ne_u32_e32 vcc_lo, 0x7c0000, v3
                                        ; implicit-def: $vgpr3
	s_and_saveexec_b32 s20, vcc_lo
	s_xor_b32 s20, exec_lo, s20
	s_cbranch_execz .LBB4_1491
; %bb.1488:                             ;   in Loop: Header=BB4_979 Depth=2
	v_bfe_u32 v3, v64, 18, 5
	s_mov_b32 s21, exec_lo
	s_delay_alu instid0(VALU_DEP_1)
	v_cmpx_eq_u32_e32 0, v3
; %bb.1489:                             ;   in Loop: Header=BB4_979 Depth=2
	v_clz_i32_u32_e32 v3, v30
	s_delay_alu instid0(VALU_DEP_1) | instskip(NEXT) | instid1(VALU_DEP_1)
	v_min_u32_e32 v3, 32, v3
	v_subrev_nc_u32_e32 v30, 29, v3
	s_delay_alu instid0(VALU_DEP_1) | instskip(NEXT) | instid1(VALU_DEP_1)
	v_lshlrev_b64_e32 v[118:119], v30, v[2:3]
	v_dual_sub_nc_u32 v3, 30, v3 :: v_dual_bitop2_b32 v30, 3, v118 bitop3:0x40
; %bb.1490:                             ;   in Loop: Header=BB4_979 Depth=2
	s_or_b32 exec_lo, exec_lo, s21
	v_lshlrev_b32_e32 v2, 24, v2
	s_delay_alu instid0(VALU_DEP_1) | instskip(NEXT) | instid1(VALU_DEP_1)
	v_and_b32_e32 v2, 0x80000000, v2
	v_lshl_add_u32 v2, v3, 23, v2
	s_delay_alu instid0(VALU_DEP_1) | instskip(NEXT) | instid1(VALU_DEP_1)
	v_lshl_or_b32 v2, v30, 21, v2
                                        ; implicit-def: $vgpr30
	v_add_nc_u32_e32 v3, 0x38000000, v2
                                        ; implicit-def: $vgpr2
.LBB4_1491:                             ;   in Loop: Header=BB4_979 Depth=2
	s_and_not1_saveexec_b32 s20, s20
; %bb.1492:                             ;   in Loop: Header=BB4_979 Depth=2
	v_bfe_i32 v2, v2, 0, 8
	s_delay_alu instid0(VALU_DEP_1) | instskip(SKIP_2) | instid1(VALU_DEP_2)
	v_cmp_lt_i16_e32 vcc_lo, -1, v2
	v_cndmask_b32_e32 v2, 0xff800000, v21, vcc_lo
	v_cmp_eq_u32_e32 vcc_lo, 0, v30
	v_cndmask_b32_e32 v3, 0x7f800001, v2, vcc_lo
; %bb.1493:                             ;   in Loop: Header=BB4_979 Depth=2
	s_or_b32 exec_lo, exec_lo, s20
.LBB4_1494:                             ;   in Loop: Header=BB4_979 Depth=2
	s_delay_alu instid0(SALU_CYCLE_1)
	s_or_b32 exec_lo, exec_lo, s19
.LBB4_1495:                             ;   in Loop: Header=BB4_979 Depth=2
	s_delay_alu instid0(SALU_CYCLE_1) | instskip(NEXT) | instid1(VALU_DEP_1)
	s_or_b32 exec_lo, exec_lo, s7
	v_add_f32_e32 v30, v5, v3
	v_dual_mov_b32 v119, v65 :: v_dual_mov_b32 v3, v65
	s_delay_alu instid0(VALU_DEP_2) | instskip(SKIP_2) | instid1(VALU_DEP_3)
	v_and_b32_e32 v118, 0x7f800000, v30
	v_and_b32_e32 v2, 0x7fffff, v30
	v_lshrrev_b32_e32 v5, 24, v30
	v_cmp_ne_u64_e32 vcc_lo, 0x7f800000, v[118:119]
                                        ; implicit-def: $vgpr118
	s_and_saveexec_b32 s7, vcc_lo
	s_delay_alu instid0(SALU_CYCLE_1)
	s_xor_b32 s19, exec_lo, s7
	s_cbranch_execz .LBB4_1509
; %bb.1496:                             ;   in Loop: Header=BB4_979 Depth=2
	v_and_b32_e32 v118, 0x7fffffff, v30
	v_mov_b32_e32 v119, v65
	v_and_b32_e32 v5, 0x80, v5
	s_delay_alu instid0(VALU_DEP_2) | instskip(SKIP_1) | instid1(SALU_CYCLE_1)
	v_cmp_gt_u64_e32 vcc_lo, 0x47600001, v[118:119]
                                        ; implicit-def: $vgpr118
	s_and_saveexec_b32 s7, vcc_lo
	s_xor_b32 s20, exec_lo, s7
	s_cbranch_execz .LBB4_1506
; %bb.1497:                             ;   in Loop: Header=BB4_979 Depth=2
	v_mov_b32_e32 v118, 0
	s_mov_b32 s21, exec_lo
	v_cmpx_ne_u32_e32 0, v30
	s_cbranch_execz .LBB4_1505
; %bb.1498:                             ;   in Loop: Header=BB4_979 Depth=2
	v_bfe_u32 v30, v30, 23, 8
	v_or_b32_e32 v47, 0x800000, v2
	s_delay_alu instid0(VALU_DEP_2) | instskip(SKIP_1) | instid1(VALU_DEP_2)
	v_sub_nc_u32_e32 v118, 0x71, v30
	v_cmp_gt_u32_e32 vcc_lo, 0x72, v30
	v_cndmask_b32_e32 v118, 0, v118, vcc_lo
	v_cmp_eq_u32_e32 vcc_lo, 0, v30
	s_delay_alu instid0(VALU_DEP_2) | instskip(SKIP_1) | instid1(VALU_DEP_2)
	v_cndmask_b32_e64 v46, v118, 0x70, vcc_lo
	v_cndmask_b32_e32 v2, v47, v2, vcc_lo
	v_dual_add_nc_u32 v118, 21, v46 :: v_dual_add_nc_u32 v62, 20, v46
	s_delay_alu instid0(VALU_DEP_1) | instskip(NEXT) | instid1(VALU_DEP_2)
	v_lshlrev_b64_e64 v[118:119], v118, -1
	v_lshlrev_b64_e64 v[62:63], v62, 1
	s_delay_alu instid0(VALU_DEP_2) | instskip(SKIP_1) | instid1(VALU_DEP_4)
	v_bfi_b32 v118, v118, 0, v2
	v_lshrrev_b64 v[2:3], v46, v[2:3]
	v_bfi_b32 v119, v119, 0, 0
	s_delay_alu instid0(VALU_DEP_1) | instskip(NEXT) | instid1(VALU_DEP_3)
	v_cmp_eq_u64_e64 s7, v[118:119], v[62:63]
	v_mov_b64_e32 v[118:119], v[2:3]
	s_and_saveexec_b32 s22, s7
; %bb.1499:                             ;   in Loop: Header=BB4_979 Depth=2
	v_bfe_u32 v118, v2, 21, 1
	v_mov_b32_e32 v119, v65
	s_delay_alu instid0(VALU_DEP_1) | instskip(NEXT) | instid1(VALU_DEP_1)
	v_add_nc_u64_e32 v[118:119], v[2:3], v[118:119]
	v_add_nc_u64_e32 v[118:119], -1, v[118:119]
; %bb.1500:                             ;   in Loop: Header=BB4_979 Depth=2
	s_or_b32 exec_lo, exec_lo, s22
	v_add_nc_u32_e32 v3, 0xffffff81, v30
	v_lshrrev_b32_e32 v30, 23, v2
	s_mov_b32 s7, exec_lo
	s_delay_alu instid0(VALU_DEP_2) | instskip(NEXT) | instid1(VALU_DEP_1)
	v_cndmask_b32_e64 v3, v3, 0xffffff82, vcc_lo
	v_add3_u32 v119, v46, v3, v30
	v_and_b32_e32 v3, 0x1fffff, v118
                                        ; implicit-def: $vgpr30
	s_delay_alu instid0(VALU_DEP_1) | instskip(SKIP_1) | instid1(VALU_DEP_2)
	v_dual_add_nc_u32 v118, 14, v119 :: v_dual_add_nc_u32 v2, v3, v2
	v_mov_b32_e32 v3, v65
	v_cmpx_ne_u32_e32 0, v118
	s_xor_b32 s7, exec_lo, s7
; %bb.1501:                             ;   in Loop: Header=BB4_979 Depth=2
	s_delay_alu instid0(VALU_DEP_2) | instskip(SKIP_1) | instid1(VALU_DEP_1)
	v_cmp_lt_u64_e32 vcc_lo, 0xffffff, v[2:3]
	v_add_nc_u32_e32 v30, 15, v119
	v_cndmask_b32_e32 v30, v118, v30, vcc_lo
	v_cndmask_b32_e64 v118, 0, 1, vcc_lo
	s_delay_alu instid0(VALU_DEP_1)
	v_lshrrev_b64 v[2:3], v118, v[2:3]
; %bb.1502:                             ;   in Loop: Header=BB4_979 Depth=2
	s_and_not1_saveexec_b32 s7, s7
; %bb.1503:                             ;   in Loop: Header=BB4_979 Depth=2
	s_delay_alu instid0(VALU_DEP_1)
	v_bfe_u32 v30, v2, 23, 1
; %bb.1504:                             ;   in Loop: Header=BB4_979 Depth=2
	s_or_b32 exec_lo, exec_lo, s7
	s_delay_alu instid0(VALU_DEP_2) | instskip(NEXT) | instid1(VALU_DEP_2)
	v_lshrrev_b64 v[2:3], 21, v[2:3]
	v_cmp_gt_i32_e32 vcc_lo, 32, v30
	v_min_i32_e32 v118, 31, v30
	v_cmp_eq_u32_e64 s7, 0, v30
	s_delay_alu instid0(VALU_DEP_2) | instskip(SKIP_1) | instid1(VALU_DEP_2)
	v_dual_cndmask_b32 v3, 0, v3 :: v_dual_lshlrev_b32 v118, 2, v118
	v_cndmask_b32_e32 v2, 3, v2, vcc_lo
	v_and_b32_e32 v118, 0xfc, v118
	s_delay_alu instid0(VALU_DEP_2) | instskip(NEXT) | instid1(VALU_DEP_2)
	v_cmp_eq_u64_e32 vcc_lo, 0, v[2:3]
	v_and_or_b32 v2, v2, 3, v118
	s_and_b32 s7, s7, vcc_lo
	s_delay_alu instid0(VALU_DEP_1) | instid1(SALU_CYCLE_1)
	v_cndmask_b32_e64 v2, v2, 0, s7
	s_delay_alu instid0(VALU_DEP_1)
	v_or_b32_e32 v118, v2, v5
.LBB4_1505:                             ;   in Loop: Header=BB4_979 Depth=2
	s_or_b32 exec_lo, exec_lo, s21
                                        ; implicit-def: $vgpr5
.LBB4_1506:                             ;   in Loop: Header=BB4_979 Depth=2
	s_and_not1_saveexec_b32 s7, s20
; %bb.1507:                             ;   in Loop: Header=BB4_979 Depth=2
	v_or_b32_e32 v118, 0x7b, v5
; %bb.1508:                             ;   in Loop: Header=BB4_979 Depth=2
	s_or_b32 exec_lo, exec_lo, s7
                                        ; implicit-def: $vgpr30
                                        ; implicit-def: $vgpr2_vgpr3
                                        ; implicit-def: $vgpr5
.LBB4_1509:                             ;   in Loop: Header=BB4_979 Depth=2
	s_and_not1_saveexec_b32 s7, s19
	s_cbranch_execz .LBB4_1515
; %bb.1510:                             ;   in Loop: Header=BB4_979 Depth=2
	s_mov_b32 s19, exec_lo
                                        ; implicit-def: $vgpr118
	v_cmpx_ne_u64_e32 0, v[2:3]
	s_xor_b32 s19, exec_lo, s19
; %bb.1511:                             ;   in Loop: Header=BB4_979 Depth=2
	v_or_b32_e32 v118, 0x7f, v5
                                        ; implicit-def: $vgpr30
; %bb.1512:                             ;   in Loop: Header=BB4_979 Depth=2
	s_and_not1_saveexec_b32 s19, s19
; %bb.1513:                             ;   in Loop: Header=BB4_979 Depth=2
	v_cmp_lt_i32_e32 vcc_lo, -1, v30
	v_cndmask_b32_e32 v118, 0xfc, v59, vcc_lo
; %bb.1514:                             ;   in Loop: Header=BB4_979 Depth=2
	s_or_b32 exec_lo, exec_lo, s19
.LBB4_1515:                             ;   in Loop: Header=BB4_979 Depth=2
	s_delay_alu instid0(SALU_CYCLE_1) | instskip(SKIP_3) | instid1(VALU_DEP_2)
	s_or_b32 exec_lo, exec_lo, s7
	v_dual_mov_b32 v2, v65 :: v_dual_mov_b32 v3, v4
	v_dual_mov_b32 v5, 0 :: v_dual_mov_b32 v119, 0
	s_mov_b32 s7, exec_lo
	v_cmpx_lt_u64_e64 s[12:13], v[2:3]
	s_cbranch_execz .LBB4_1525
; %bb.1516:                             ;   in Loop: Header=BB4_979 Depth=2
	v_lshrrev_b32_e32 v30, 24, v4
	v_bfrev_b32_e32 v119, 1
	s_mov_b32 s19, exec_lo
	s_delay_alu instid0(VALU_DEP_2)
	v_cmpx_ne_u32_e32 0x80, v30
	s_cbranch_execz .LBB4_1524
; %bb.1517:                             ;   in Loop: Header=BB4_979 Depth=2
	v_and_b32_e32 v119, 0x7c000000, v4
	v_bfe_u32 v46, v4, 24, 2
	s_delay_alu instid0(VALU_DEP_2) | instskip(SKIP_1) | instid1(SALU_CYCLE_1)
	v_cmp_ne_u32_e32 vcc_lo, 0x7c000000, v119
                                        ; implicit-def: $vgpr119
	s_and_saveexec_b32 s20, vcc_lo
	s_xor_b32 s20, exec_lo, s20
	s_cbranch_execz .LBB4_1521
; %bb.1518:                             ;   in Loop: Header=BB4_979 Depth=2
	v_bfe_u32 v2, v4, 26, 5
	s_mov_b32 s21, exec_lo
	s_delay_alu instid0(VALU_DEP_1)
	v_cmpx_eq_u32_e32 0, v2
; %bb.1519:                             ;   in Loop: Header=BB4_979 Depth=2
	v_clz_i32_u32_e32 v2, v46
	s_delay_alu instid0(VALU_DEP_1) | instskip(NEXT) | instid1(VALU_DEP_1)
	v_min_u32_e32 v2, 32, v2
	v_subrev_nc_u32_e32 v3, 29, v2
	v_sub_nc_u32_e32 v2, 30, v2
	s_delay_alu instid0(VALU_DEP_2) | instskip(NEXT) | instid1(VALU_DEP_1)
	v_lshlrev_b64_e32 v[46:47], v3, v[30:31]
	v_and_b32_e32 v46, 3, v46
; %bb.1520:                             ;   in Loop: Header=BB4_979 Depth=2
	s_or_b32 exec_lo, exec_lo, s21
	v_and_b32_e32 v3, 0x80000000, v4
	s_delay_alu instid0(VALU_DEP_1) | instskip(NEXT) | instid1(VALU_DEP_1)
	v_lshl_add_u32 v2, v2, 23, v3
	v_lshl_or_b32 v2, v46, 21, v2
                                        ; implicit-def: $vgpr46
	s_delay_alu instid0(VALU_DEP_1)
	v_add_nc_u32_e32 v119, 0x38000000, v2
                                        ; implicit-def: $vgpr2_vgpr3
.LBB4_1521:                             ;   in Loop: Header=BB4_979 Depth=2
	s_and_not1_saveexec_b32 s20, s20
; %bb.1522:                             ;   in Loop: Header=BB4_979 Depth=2
	v_cmp_lt_i64_e32 vcc_lo, -1, v[2:3]
	v_cndmask_b32_e32 v2, 0xff800000, v21, vcc_lo
	v_cmp_eq_u32_e32 vcc_lo, 0, v46
	s_delay_alu instid0(VALU_DEP_2)
	v_cndmask_b32_e32 v119, 0x7f800001, v2, vcc_lo
; %bb.1523:                             ;   in Loop: Header=BB4_979 Depth=2
	s_or_b32 exec_lo, exec_lo, s20
.LBB4_1524:                             ;   in Loop: Header=BB4_979 Depth=2
	s_delay_alu instid0(SALU_CYCLE_1)
	s_or_b32 exec_lo, exec_lo, s19
.LBB4_1525:                             ;   in Loop: Header=BB4_979 Depth=2
	s_delay_alu instid0(SALU_CYCLE_1) | instskip(NEXT) | instid1(SALU_CYCLE_1)
	s_or_b32 exec_lo, exec_lo, s7
	s_mov_b32 s7, exec_lo
	v_cmpx_lt_u32_e32 0xffffff, v64
	s_cbranch_execz .LBB4_1535
; %bb.1526:                             ;   in Loop: Header=BB4_979 Depth=2
	v_lshrrev_b32_e32 v2, 24, v64
	v_bfrev_b32_e32 v5, 1
	s_mov_b32 s19, exec_lo
	s_delay_alu instid0(VALU_DEP_2)
	v_cmpx_ne_u32_e32 0x80, v2
	s_cbranch_execz .LBB4_1534
; %bb.1527:                             ;   in Loop: Header=BB4_979 Depth=2
	v_and_b32_e32 v4, 0x7c000000, v64
	v_bfe_u32 v3, v64, 24, 2
	s_mov_b32 s20, exec_lo
                                        ; implicit-def: $vgpr5
	s_delay_alu instid0(VALU_DEP_2)
	v_cmpx_ne_u32_e32 0x7c000000, v4
	s_xor_b32 s20, exec_lo, s20
	s_cbranch_execz .LBB4_1531
; %bb.1528:                             ;   in Loop: Header=BB4_979 Depth=2
	v_bfe_u32 v4, v64, 26, 5
	s_mov_b32 s21, exec_lo
	s_delay_alu instid0(VALU_DEP_1)
	v_cmpx_eq_u32_e32 0, v4
; %bb.1529:                             ;   in Loop: Header=BB4_979 Depth=2
	v_clz_i32_u32_e32 v3, v3
	s_delay_alu instid0(VALU_DEP_1) | instskip(NEXT) | instid1(VALU_DEP_1)
	v_min_u32_e32 v4, 32, v3
	v_subrev_nc_u32_e32 v3, 29, v4
	s_delay_alu instid0(VALU_DEP_1) | instskip(NEXT) | instid1(VALU_DEP_1)
	v_lshlrev_b64_e32 v[2:3], v3, v[2:3]
	v_dual_sub_nc_u32 v4, 30, v4 :: v_dual_bitop2_b32 v3, 3, v2 bitop3:0x40
; %bb.1530:                             ;   in Loop: Header=BB4_979 Depth=2
	s_or_b32 exec_lo, exec_lo, s21
	v_and_b32_e32 v2, 0x80000000, v64
	s_delay_alu instid0(VALU_DEP_1) | instskip(NEXT) | instid1(VALU_DEP_1)
	v_lshl_add_u32 v2, v4, 23, v2
	v_lshl_or_b32 v2, v3, 21, v2
                                        ; implicit-def: $vgpr3
	s_delay_alu instid0(VALU_DEP_1)
	v_add_nc_u32_e32 v5, 0x38000000, v2
.LBB4_1531:                             ;   in Loop: Header=BB4_979 Depth=2
	s_and_not1_saveexec_b32 s20, s20
; %bb.1532:                             ;   in Loop: Header=BB4_979 Depth=2
	v_cmp_lt_i32_e32 vcc_lo, -1, v64
	v_cndmask_b32_e32 v2, 0xff800000, v21, vcc_lo
	v_cmp_eq_u32_e32 vcc_lo, 0, v3
	s_delay_alu instid0(VALU_DEP_2)
	v_cndmask_b32_e32 v5, 0x7f800001, v2, vcc_lo
; %bb.1533:                             ;   in Loop: Header=BB4_979 Depth=2
	s_or_b32 exec_lo, exec_lo, s20
.LBB4_1534:                             ;   in Loop: Header=BB4_979 Depth=2
	s_delay_alu instid0(SALU_CYCLE_1)
	s_or_b32 exec_lo, exec_lo, s19
.LBB4_1535:                             ;   in Loop: Header=BB4_979 Depth=2
	s_delay_alu instid0(SALU_CYCLE_1) | instskip(NEXT) | instid1(VALU_DEP_1)
	s_or_b32 exec_lo, exec_lo, s7
	v_dual_add_f32 v3, v119, v5 :: v_dual_mov_b32 v5, v65
                                        ; implicit-def: $vgpr2
	s_delay_alu instid0(VALU_DEP_1) | instskip(SKIP_1) | instid1(VALU_DEP_2)
	v_and_b32_e32 v4, 0x7f800000, v3
	v_and_b32_e32 v64, 0x7fffff, v3
	v_cmp_ne_u64_e32 vcc_lo, 0x7f800000, v[4:5]
	v_lshrrev_b32_e32 v4, 24, v3
	s_and_saveexec_b32 s7, vcc_lo
	s_delay_alu instid0(SALU_CYCLE_1)
	s_xor_b32 s19, exec_lo, s7
	s_cbranch_execz .LBB4_1549
; %bb.1536:                             ;   in Loop: Header=BB4_979 Depth=2
	v_and_b32_e32 v46, 0x7fffffff, v3
	v_mov_b32_e32 v47, v65
	v_and_b32_e32 v30, 0x80, v4
                                        ; implicit-def: $vgpr2
	s_mov_b32 s7, exec_lo
	s_delay_alu instid0(VALU_DEP_2)
	v_cmpx_gt_u64_e32 0x47600001, v[46:47]
	s_xor_b32 s20, exec_lo, s7
	s_cbranch_execz .LBB4_1546
; %bb.1537:                             ;   in Loop: Header=BB4_979 Depth=2
	v_mov_b32_e32 v2, 0
	s_mov_b32 s21, exec_lo
	v_cmpx_ne_u32_e32 0, v3
	s_cbranch_execz .LBB4_1545
; %bb.1538:                             ;   in Loop: Header=BB4_979 Depth=2
	v_bfe_u32 v119, v3, 23, 8
	v_or_b32_e32 v4, 0x800000, v64
	s_delay_alu instid0(VALU_DEP_2) | instskip(SKIP_1) | instid1(VALU_DEP_2)
	v_sub_nc_u32_e32 v2, 0x71, v119
	v_cmp_gt_u32_e32 vcc_lo, 0x72, v119
	v_cndmask_b32_e32 v2, 0, v2, vcc_lo
	v_cmp_eq_u32_e32 vcc_lo, 0, v119
	v_cndmask_b32_e32 v64, v4, v64, vcc_lo
	s_delay_alu instid0(VALU_DEP_3) | instskip(NEXT) | instid1(VALU_DEP_1)
	v_cndmask_b32_e64 v46, v2, 0x70, vcc_lo
	v_dual_add_nc_u32 v2, 21, v46 :: v_dual_add_nc_u32 v5, 20, v46
	s_delay_alu instid0(VALU_DEP_1) | instskip(NEXT) | instid1(VALU_DEP_2)
	v_lshlrev_b64_e64 v[2:3], v2, -1
	v_lshlrev_b64_e64 v[4:5], v5, 1
	s_delay_alu instid0(VALU_DEP_2) | instskip(NEXT) | instid1(VALU_DEP_3)
	v_bfi_b32 v63, v3, 0, 0
	v_bfi_b32 v62, v2, 0, v64
	v_lshrrev_b64 v[2:3], v46, v[64:65]
	s_delay_alu instid0(VALU_DEP_2) | instskip(NEXT) | instid1(VALU_DEP_2)
	v_cmp_eq_u64_e64 s7, v[62:63], v[4:5]
	v_mov_b64_e32 v[4:5], v[2:3]
	s_and_saveexec_b32 s22, s7
; %bb.1539:                             ;   in Loop: Header=BB4_979 Depth=2
	v_bfe_u32 v64, v2, 21, 1
	s_delay_alu instid0(VALU_DEP_1) | instskip(NEXT) | instid1(VALU_DEP_1)
	v_add_nc_u64_e32 v[4:5], v[2:3], v[64:65]
	v_add_nc_u64_e32 v[4:5], -1, v[4:5]
; %bb.1540:                             ;   in Loop: Header=BB4_979 Depth=2
	s_or_b32 exec_lo, exec_lo, s22
	v_add_nc_u32_e32 v3, 0xffffff81, v119
	v_lshrrev_b32_e32 v5, 23, v2
	s_mov_b32 s7, exec_lo
	s_delay_alu instid0(VALU_DEP_2) | instskip(NEXT) | instid1(VALU_DEP_1)
	v_cndmask_b32_e64 v3, v3, 0xffffff82, vcc_lo
	v_add3_u32 v5, v46, v3, v5
	v_and_b32_e32 v3, 0x1fffff, v4
                                        ; implicit-def: $vgpr4
	s_delay_alu instid0(VALU_DEP_1) | instskip(NEXT) | instid1(VALU_DEP_1)
	v_dual_add_nc_u32 v119, 14, v5 :: v_dual_add_nc_u32 v64, v3, v2
                                        ; implicit-def: $vgpr2_vgpr3
	v_cmpx_ne_u32_e32 0, v119
	s_xor_b32 s7, exec_lo, s7
; %bb.1541:                             ;   in Loop: Header=BB4_979 Depth=2
	s_delay_alu instid0(VALU_DEP_2) | instskip(SKIP_1) | instid1(VALU_DEP_1)
	v_cmp_lt_u64_e32 vcc_lo, 0xffffff, v[64:65]
	v_add_nc_u32_e32 v2, 15, v5
	v_cndmask_b32_e32 v4, v119, v2, vcc_lo
	v_cndmask_b32_e64 v2, 0, 1, vcc_lo
	s_delay_alu instid0(VALU_DEP_1)
	v_lshrrev_b64 v[2:3], v2, v[64:65]
; %bb.1542:                             ;   in Loop: Header=BB4_979 Depth=2
	s_and_not1_saveexec_b32 s7, s7
; %bb.1543:                             ;   in Loop: Header=BB4_979 Depth=2
	v_mov_b64_e32 v[2:3], v[64:65]
	v_bfe_u32 v4, v64, 23, 1
; %bb.1544:                             ;   in Loop: Header=BB4_979 Depth=2
	s_or_b32 exec_lo, exec_lo, s7
	s_delay_alu instid0(VALU_DEP_2) | instskip(NEXT) | instid1(VALU_DEP_2)
	v_lshrrev_b64 v[2:3], 21, v[2:3]
	v_cmp_gt_i32_e32 vcc_lo, 32, v4
	v_min_i32_e32 v5, 31, v4
	v_cmp_eq_u32_e64 s7, 0, v4
	s_delay_alu instid0(VALU_DEP_2) | instskip(SKIP_1) | instid1(VALU_DEP_2)
	v_dual_cndmask_b32 v3, 0, v3, vcc_lo :: v_dual_lshlrev_b32 v5, 2, v5
	v_cndmask_b32_e32 v2, 3, v2, vcc_lo
	v_and_b32_e32 v5, 0xfc, v5
	s_delay_alu instid0(VALU_DEP_2) | instskip(NEXT) | instid1(VALU_DEP_2)
	v_cmp_eq_u64_e32 vcc_lo, 0, v[2:3]
	v_and_or_b32 v2, v2, 3, v5
	s_and_b32 s7, s7, vcc_lo
	s_delay_alu instid0(VALU_DEP_1) | instid1(SALU_CYCLE_1)
	v_cndmask_b32_e64 v2, v2, 0, s7
	s_delay_alu instid0(VALU_DEP_1)
	v_or_b32_e32 v2, v2, v30
.LBB4_1545:                             ;   in Loop: Header=BB4_979 Depth=2
	s_or_b32 exec_lo, exec_lo, s21
                                        ; implicit-def: $vgpr30
.LBB4_1546:                             ;   in Loop: Header=BB4_979 Depth=2
	s_and_not1_saveexec_b32 s7, s20
; %bb.1547:                             ;   in Loop: Header=BB4_979 Depth=2
	v_or_b32_e32 v2, 0x7b, v30
; %bb.1548:                             ;   in Loop: Header=BB4_979 Depth=2
	s_or_b32 exec_lo, exec_lo, s7
                                        ; implicit-def: $vgpr3
                                        ; implicit-def: $vgpr4
.LBB4_1549:                             ;   in Loop: Header=BB4_979 Depth=2
	s_and_not1_saveexec_b32 s7, s19
	s_cbranch_execz .LBB4_1555
; %bb.1550:                             ;   in Loop: Header=BB4_979 Depth=2
	s_mov_b32 s19, exec_lo
                                        ; implicit-def: $vgpr2
	v_cmpx_ne_u64_e32 0, v[64:65]
	s_xor_b32 s19, exec_lo, s19
; %bb.1551:                             ;   in Loop: Header=BB4_979 Depth=2
	v_or_b32_e32 v2, 0x7f, v4
                                        ; implicit-def: $vgpr3
; %bb.1552:                             ;   in Loop: Header=BB4_979 Depth=2
	s_and_not1_saveexec_b32 s19, s19
; %bb.1553:                             ;   in Loop: Header=BB4_979 Depth=2
	v_cmp_lt_i32_e32 vcc_lo, -1, v3
	v_cndmask_b32_e32 v2, 0xfc, v59, vcc_lo
; %bb.1554:                             ;   in Loop: Header=BB4_979 Depth=2
	s_or_b32 exec_lo, exec_lo, s19
.LBB4_1555:                             ;   in Loop: Header=BB4_979 Depth=2
	s_delay_alu instid0(SALU_CYCLE_1) | instskip(SKIP_1) | instid1(VALU_DEP_2)
	s_or_b32 exec_lo, exec_lo, s7
	v_dual_lshlrev_b32 v3, 16, v40 :: v_dual_lshlrev_b32 v4, 16, v118
	v_dual_lshlrev_b32 v5, 24, v41 :: v_dual_lshlrev_b32 v30, 24, v2
	v_cmp_lt_u32_e32 vcc_lo, 7, v61
	s_delay_alu instid0(VALU_DEP_3) | instskip(NEXT) | instid1(VALU_DEP_4)
	v_lshl_or_b32 v2, v44, 8, v3
	v_lshl_or_b32 v3, v45, 8, v4
	s_mov_b32 s7, -1
	s_cmp_lg_u32 vcc_lo, exec_lo
	s_delay_alu instid0(VALU_DEP_2) | instskip(NEXT) | instid1(VALU_DEP_2)
	v_or3_b32 v2, v2, v5, v117
	v_or3_b32 v3, v3, v30, v43
	s_cbranch_scc0 .LBB4_1571
; %bb.1556:                             ;   in Loop: Header=BB4_979 Depth=2
	s_mov_b32 s19, exec_lo
	flat_store_b8 v[18:19], v117
	s_wait_xcnt 0x0
	v_cmpx_ne_u32_e32 1, v61
	s_cbranch_execz .LBB4_1558
; %bb.1557:                             ;   in Loop: Header=BB4_979 Depth=2
	v_lshrrev_b32_e32 v4, 8, v2
	flat_store_b8 v[18:19], v4 offset:1
.LBB4_1558:                             ;   in Loop: Header=BB4_979 Depth=2
	s_wait_xcnt 0x0
	s_or_b32 exec_lo, exec_lo, s19
	s_delay_alu instid0(SALU_CYCLE_1)
	s_mov_b32 s19, exec_lo
	v_cmpx_lt_u32_e32 2, v61
	s_cbranch_execz .LBB4_1560
; %bb.1559:                             ;   in Loop: Header=BB4_979 Depth=2
	flat_store_d16_hi_b8 v[18:19], v2 offset:2
.LBB4_1560:                             ;   in Loop: Header=BB4_979 Depth=2
	s_wait_xcnt 0x0
	s_or_b32 exec_lo, exec_lo, s19
	s_delay_alu instid0(SALU_CYCLE_1)
	s_mov_b32 s19, exec_lo
	v_cmpx_lt_u32_e32 3, v61
	s_cbranch_execz .LBB4_1562
; %bb.1561:                             ;   in Loop: Header=BB4_979 Depth=2
	v_lshrrev_b32_e32 v4, 24, v2
	flat_store_b8 v[18:19], v4 offset:3
.LBB4_1562:                             ;   in Loop: Header=BB4_979 Depth=2
	s_wait_xcnt 0x0
	s_or_b32 exec_lo, exec_lo, s19
	s_delay_alu instid0(SALU_CYCLE_1)
	s_mov_b32 s19, exec_lo
	v_cmpx_lt_u32_e32 4, v61
	s_cbranch_execz .LBB4_1564
; %bb.1563:                             ;   in Loop: Header=BB4_979 Depth=2
	flat_store_b8 v[18:19], v43 offset:4
.LBB4_1564:                             ;   in Loop: Header=BB4_979 Depth=2
	s_wait_xcnt 0x0
	s_or_b32 exec_lo, exec_lo, s19
	s_delay_alu instid0(SALU_CYCLE_1)
	s_mov_b32 s19, exec_lo
	v_cmpx_lt_u32_e32 5, v61
	s_cbranch_execz .LBB4_1566
; %bb.1565:                             ;   in Loop: Header=BB4_979 Depth=2
	v_lshrrev_b32_e32 v4, 8, v3
	flat_store_b8 v[18:19], v4 offset:5
.LBB4_1566:                             ;   in Loop: Header=BB4_979 Depth=2
	s_wait_xcnt 0x0
	s_or_b32 exec_lo, exec_lo, s19
	s_delay_alu instid0(SALU_CYCLE_1)
	s_mov_b32 s19, exec_lo
	v_cmpx_lt_u32_e32 6, v61
	s_cbranch_execz .LBB4_1568
; %bb.1567:                             ;   in Loop: Header=BB4_979 Depth=2
	flat_store_d16_hi_b8 v[18:19], v3 offset:6
.LBB4_1568:                             ;   in Loop: Header=BB4_979 Depth=2
	s_wait_xcnt 0x0
	s_or_b32 exec_lo, exec_lo, s19
	s_and_saveexec_b32 s7, vcc_lo
	s_cbranch_execz .LBB4_1570
; %bb.1569:                             ;   in Loop: Header=BB4_979 Depth=2
	v_lshrrev_b32_e32 v4, 24, v3
	flat_store_b8 v[18:19], v4 offset:7
.LBB4_1570:                             ;   in Loop: Header=BB4_979 Depth=2
	s_wait_xcnt 0x0
	s_or_b32 exec_lo, exec_lo, s7
	s_mov_b32 s7, 0
.LBB4_1571:                             ;   in Loop: Header=BB4_979 Depth=2
	s_delay_alu instid0(SALU_CYCLE_1)
	s_and_b32 vcc_lo, exec_lo, s7
	s_cbranch_vccz .LBB4_978
; %bb.1572:                             ;   in Loop: Header=BB4_979 Depth=2
	global_store_b64 v[18:19], v[2:3], off
	s_branch .LBB4_978
.LBB4_1573:                             ;   in Loop: Header=BB4_46 Depth=1
	s_or_b32 exec_lo, exec_lo, s18
	s_delay_alu instid0(SALU_CYCLE_1)
	s_or_b32 exec_lo, exec_lo, s8
	s_and_saveexec_b32 s7, s3
	s_cbranch_execz .LBB4_976
.LBB4_1574:                             ;   in Loop: Header=BB4_46 Depth=1
	s_and_saveexec_b32 s8, s4
	s_delay_alu instid0(SALU_CYCLE_1)
	s_xor_b32 s8, exec_lo, s8
	s_cbranch_execz .LBB4_1589
; %bb.1575:                             ;   in Loop: Header=BB4_46 Depth=1
	s_and_saveexec_b32 s18, s5
	s_cbranch_execz .LBB4_1588
; %bb.1576:                             ;   in Loop: Header=BB4_46 Depth=1
	s_mov_b32 s20, exec_lo
	s_mov_b32 s19, exec_lo
	v_mbcnt_lo_u32_b32 v2, s20, 0
	global_wb scope:SCOPE_DEV
	s_wait_storecnt_dscnt 0x0
	global_inv scope:SCOPE_DEV
	v_cmpx_eq_u32_e32 0, v2
	s_cbranch_execz .LBB4_1578
; %bb.1577:                             ;   in Loop: Header=BB4_46 Depth=1
	s_bcnt1_i32_b32 s20, s20
	s_delay_alu instid0(SALU_CYCLE_1)
	v_mov_b32_e32 v64, s20
	s_wait_loadcnt 0x0
	ds_add_u64 v0, v[64:65]
	s_trap 2
.LBB4_1578:                             ;   in Loop: Header=BB4_46 Depth=1
	s_or_b32 exec_lo, exec_lo, s19
	s_trap 2
	ds_load_b64 v[2:3], v0
	s_wait_dscnt 0x0
	v_add_nc_u64_e32 v[52:53], v[52:53], v[82:83]
	s_mov_b32 s19, exec_lo
	s_delay_alu instid0(VALU_DEP_1)
	v_cmpx_lt_u64_e64 v[2:3], v[52:53]
	s_cbranch_execz .LBB4_1587
; %bb.1579:                             ;   in Loop: Header=BB4_46 Depth=1
	s_mov_b32 s20, 0
	s_mov_b32 s23, 0
                                        ; implicit-def: $sgpr21
                                        ; implicit-def: $sgpr22
	s_branch .LBB4_1581
.LBB4_1580:                             ;   in Loop: Header=BB4_1581 Depth=2
	s_or_b32 exec_lo, exec_lo, s25
	s_delay_alu instid0(SALU_CYCLE_1) | instskip(NEXT) | instid1(SALU_CYCLE_1)
	s_and_b32 s24, exec_lo, s26
	s_or_b32 s20, s24, s20
	s_and_not1_b32 s21, s21, exec_lo
	s_and_b32 s24, s22, exec_lo
	s_delay_alu instid0(SALU_CYCLE_1)
	s_or_b32 s21, s21, s24
	s_and_not1_b32 exec_lo, exec_lo, s20
	s_cbranch_execz .LBB4_1585
.LBB4_1581:                             ;   Parent Loop BB4_46 Depth=1
                                        ; =>  This Inner Loop Header: Depth=2
	s_add_co_i32 s23, s23, 1
	s_delay_alu instid0(SALU_CYCLE_1) | instskip(SKIP_1) | instid1(SALU_CYCLE_1)
	s_cmp_lg_u32 s23, 0x2710
	s_cselect_b32 s24, -1, 0
	s_and_b32 vcc_lo, exec_lo, s24
	s_cbranch_vccz .LBB4_1583
; %bb.1582:                             ;   in Loop: Header=BB4_1581 Depth=2
	s_mov_b32 s26, -1
	s_or_b32 s22, s22, exec_lo
	s_and_saveexec_b32 s25, s24
	s_cbranch_execz .LBB4_1580
	s_branch .LBB4_1584
.LBB4_1583:                             ;   in Loop: Header=BB4_1581 Depth=2
	s_trap 2
	ds_load_b64 v[2:3], v0
	s_and_not1_b32 s24, s24, exec_lo
	s_mov_b32 s23, 0
	s_wait_loadcnt_dscnt 0x0
	flat_load_b32 v2, v[2:3] scope:SCOPE_SYS
	s_wait_loadcnt_dscnt 0x0
	global_inv scope:SCOPE_SYS
	v_cmp_eq_u32_e32 vcc_lo, 0, v2
	s_and_b32 s25, vcc_lo, exec_lo
	s_delay_alu instid0(SALU_CYCLE_1)
	s_or_b32 s24, s24, s25
	s_mov_b32 s26, -1
	s_or_b32 s22, s22, exec_lo
	s_and_saveexec_b32 s25, s24
	s_cbranch_execz .LBB4_1580
.LBB4_1584:                             ;   in Loop: Header=BB4_1581 Depth=2
	s_sleep 1
	s_trap 2
	ds_load_b64 v[2:3], v0
	s_wait_dscnt 0x0
	s_and_not1_b32 s22, s22, exec_lo
	v_cmp_ge_u64_e32 vcc_lo, v[2:3], v[52:53]
	s_or_not1_b32 s26, vcc_lo, exec_lo
	s_branch .LBB4_1580
.LBB4_1585:                             ;   in Loop: Header=BB4_46 Depth=1
	s_or_b32 exec_lo, exec_lo, s20
	s_and_saveexec_b32 s20, s21
	s_delay_alu instid0(SALU_CYCLE_1)
	s_xor_b32 s20, exec_lo, s20
	s_cbranch_execz .LBB4_1587
; %bb.1586:                             ;   in Loop: Header=BB4_46 Depth=1
	ds_store_b32 v0, v1
	s_trap 2
.LBB4_1587:                             ;   in Loop: Header=BB4_46 Depth=1
	s_or_b32 exec_lo, exec_lo, s19
	;;#ASMSTART
	s_wakeup
	;;#ASMEND
.LBB4_1588:                             ;   in Loop: Header=BB4_46 Depth=1
	s_or_b32 exec_lo, exec_lo, s18
.LBB4_1589:                             ;   in Loop: Header=BB4_46 Depth=1
	s_and_not1_saveexec_b32 s8, s8
	s_cbranch_execz .LBB4_1591
; %bb.1590:                             ;   in Loop: Header=BB4_46 Depth=1
	global_wb scope:SCOPE_DEV
	s_wait_storecnt 0x0
	s_wait_loadcnt_dscnt 0x0
	global_inv scope:SCOPE_DEV
	s_barrier_signal -1
	s_barrier_wait -1
.LBB4_1591:                             ;   in Loop: Header=BB4_46 Depth=1
	s_or_b32 exec_lo, exec_lo, s8
	s_delay_alu instid0(SALU_CYCLE_1)
	s_or_b32 exec_lo, exec_lo, s7
	s_and_saveexec_b32 s7, s6
	s_cbranch_execz .LBB4_45
.LBB4_1592:                             ;   in Loop: Header=BB4_46 Depth=1
	v_add_nc_u64_e32 v[38:39], 1, v[38:39]
	global_wb scope:SCOPE_SYS
	s_wait_storecnt 0x0
	s_wait_loadcnt_dscnt 0x0
	flat_store_b64 v[48:49], v[38:39] scope:SCOPE_SYS
	s_branch .LBB4_45
.LBB4_1593:
	s_or_b32 exec_lo, exec_lo, s16
	s_delay_alu instid0(SALU_CYCLE_1)
	s_or_b32 exec_lo, exec_lo, s14
	s_and_saveexec_b32 s1, s9
	s_cbranch_execz .LBB4_30
.LBB4_1594:
	s_wait_dscnt 0x0
	flat_store_b64 v[28:29], v[38:39] offset:104
	s_wait_xcnt 0x0
	s_or_b32 exec_lo, exec_lo, s1
	s_and_saveexec_b32 s1, s0
	s_cbranch_execnz .LBB4_31
	s_branch .LBB4_32
.LBB4_1595:
	s_or_b32 exec_lo, exec_lo, s4
	s_and_saveexec_b32 s4, s5
	s_delay_alu instid0(SALU_CYCLE_1)
	s_xor_b32 s4, exec_lo, s4
	s_cbranch_execz .LBB4_1597
; %bb.1596:
	v_mov_b32_e32 v0, 1
	ds_store_b32 v0, v0
	s_trap 2
.LBB4_1597:
	s_or_b32 exec_lo, exec_lo, s3
	;;#ASMSTART
	s_wakeup
	;;#ASMEND
.LBB4_1598:
	s_or_b32 exec_lo, exec_lo, s2
.LBB4_1599:
	s_and_not1_saveexec_b32 s1, s1
	s_cbranch_execz .LBB4_1601
; %bb.1600:
	global_wb scope:SCOPE_DEV
	s_wait_storecnt 0x0
	s_wait_loadcnt_dscnt 0x0
	global_inv scope:SCOPE_DEV
	s_barrier_signal -1
	s_barrier_wait -1
.LBB4_1601:
	s_or_b32 exec_lo, exec_lo, s0
	s_clause 0x1b
	scratch_load_b32 v91, off, s32
	scratch_load_b32 v90, off, s32 offset:4
	scratch_load_b32 v89, off, s32 offset:8
	;; [unrolled: 1-line block ×27, first 2 shown]
	s_wait_loadcnt_dscnt 0x0
	s_set_pc_i64 s[30:31]
.Lfunc_end4:
	.size	_ZN12_GLOBAL__N_17runRingI14__hip_fp8_e5m213FuncPreMulSumIS1_E7ProtoLLLi0ELi4ELi0EEEviiP15ncclDevWorkColl, .Lfunc_end4-_ZN12_GLOBAL__N_17runRingI14__hip_fp8_e5m213FuncPreMulSumIS1_E7ProtoLLLi0ELi4ELi0EEEviiP15ncclDevWorkColl
                                        ; -- End function
	.set .L_ZN12_GLOBAL__N_17runRingI14__hip_fp8_e5m213FuncPreMulSumIS1_E7ProtoLLLi0ELi4ELi0EEEviiP15ncclDevWorkColl.num_vgpr, 120
	.set .L_ZN12_GLOBAL__N_17runRingI14__hip_fp8_e5m213FuncPreMulSumIS1_E7ProtoLLLi0ELi4ELi0EEEviiP15ncclDevWorkColl.num_agpr, 0
	.set .L_ZN12_GLOBAL__N_17runRingI14__hip_fp8_e5m213FuncPreMulSumIS1_E7ProtoLLLi0ELi4ELi0EEEviiP15ncclDevWorkColl.numbered_sgpr, 41
	.set .L_ZN12_GLOBAL__N_17runRingI14__hip_fp8_e5m213FuncPreMulSumIS1_E7ProtoLLLi0ELi4ELi0EEEviiP15ncclDevWorkColl.num_named_barrier, 0
	.set .L_ZN12_GLOBAL__N_17runRingI14__hip_fp8_e5m213FuncPreMulSumIS1_E7ProtoLLLi0ELi4ELi0EEEviiP15ncclDevWorkColl.private_seg_size, 116
	.set .L_ZN12_GLOBAL__N_17runRingI14__hip_fp8_e5m213FuncPreMulSumIS1_E7ProtoLLLi0ELi4ELi0EEEviiP15ncclDevWorkColl.uses_vcc, 1
	.set .L_ZN12_GLOBAL__N_17runRingI14__hip_fp8_e5m213FuncPreMulSumIS1_E7ProtoLLLi0ELi4ELi0EEEviiP15ncclDevWorkColl.uses_flat_scratch, 1
	.set .L_ZN12_GLOBAL__N_17runRingI14__hip_fp8_e5m213FuncPreMulSumIS1_E7ProtoLLLi0ELi4ELi0EEEviiP15ncclDevWorkColl.has_dyn_sized_stack, 0
	.set .L_ZN12_GLOBAL__N_17runRingI14__hip_fp8_e5m213FuncPreMulSumIS1_E7ProtoLLLi0ELi4ELi0EEEviiP15ncclDevWorkColl.has_recursion, 0
	.set .L_ZN12_GLOBAL__N_17runRingI14__hip_fp8_e5m213FuncPreMulSumIS1_E7ProtoLLLi0ELi4ELi0EEEviiP15ncclDevWorkColl.has_indirect_call, 0
	.section	.AMDGPU.csdata,"",@progbits
; Function info:
; codeLenInByte = 46740
; TotalNumSgprs: 43
; NumVgprs: 120
; ScratchSize: 116
; MemoryBound: 0
	.text
	.p2align	2                               ; -- Begin function _Z56ncclDevFunc_ReduceScatter_RING_LL_PreMulSum_f8e5m2_0_0_4v
	.type	_Z56ncclDevFunc_ReduceScatter_RING_LL_PreMulSum_f8e5m2_0_0_4v,@function
_Z56ncclDevFunc_ReduceScatter_RING_LL_PreMulSum_f8e5m2_0_0_4v: ; @_Z56ncclDevFunc_ReduceScatter_RING_LL_PreMulSum_f8e5m2_0_0_4v
; %bb.0:
	s_wait_loadcnt_dscnt 0x0
	s_wait_kmcnt 0x0
	s_mov_b32 s56, s33
	s_mov_b32 s33, s32
	s_or_saveexec_b32 s0, -1
	scratch_store_b32 off, v41, s33 offset:4 ; 4-byte Folded Spill
	s_wait_xcnt 0x0
	s_mov_b32 exec_lo, s0
	s_add_co_i32 s32, s32, 16
	scratch_store_b32 off, v40, s33         ; 4-byte Folded Spill
	v_writelane_b32 v41, s30, 0
	v_writelane_b32 v41, s31, 1
	s_trap 2
	ds_load_b32 v0, v0
	s_wait_xcnt 0x0
	v_and_b32_e32 v40, 0x3ff, v31
	s_mov_b32 s41, s12
	s_mov_b64 s[42:43], s[8:9]
	s_mov_b32 s2, exec_lo
	s_wait_dscnt 0x0
	v_cmpx_lt_i32_e64 v40, v0
	s_cbranch_execz .LBB5_5
; %bb.1:
	s_load_b32 s0, s[42:43], 0x0
	s_bfe_u32 s1, ttmp6, 0x4000c
	s_and_b32 s3, ttmp6, 15
	s_add_co_i32 s1, s1, 1
	s_getreg_b32 s4, hwreg(HW_REG_IB_STS2, 6, 4)
	s_mul_i32 s1, ttmp9, s1
	v_mov_b32_e32 v2, v40
	s_add_co_i32 s3, s3, s1
	s_cmp_eq_u32 s4, 0
                                        ; implicit-def: $vgpr3
	s_cselect_b32 s1, ttmp9, s3
	s_mov_b32 s3, 0
	s_wait_kmcnt 0x0
	s_cmp_lt_u32 s1, s0
	s_mov_b32 s1, 0
	s_cselect_b32 s0, 12, 18
	s_delay_alu instid0(SALU_CYCLE_1)
	s_add_nc_u64 s[4:5], s[42:43], s[0:1]
	s_load_u16 s0, s[4:5], 0x0
	s_trap 2
	ds_load_b32 v1, v0
	s_wait_dscnt 0x0
	s_wait_kmcnt 0x0
	v_mul_lo_u32 v1, v1, s0
	s_branch .LBB5_3
.LBB5_2:                                ;   in Loop: Header=BB5_3 Depth=1
	s_or_b32 exec_lo, exec_lo, s4
	v_dual_add_nc_u32 v2, s0, v2 :: v_dual_add_nc_u32 v3, v3, v1
	s_delay_alu instid0(VALU_DEP_1) | instskip(SKIP_1) | instid1(SALU_CYCLE_1)
	v_cmp_ge_i32_e32 vcc_lo, v2, v0
	s_or_b32 s3, vcc_lo, s3
	s_and_not1_b32 exec_lo, exec_lo, s3
	s_cbranch_execz .LBB5_5
.LBB5_3:                                ; =>This Inner Loop Header: Depth=1
	ds_load_b32 v4, v3
	s_mov_b32 s4, exec_lo
	s_wait_dscnt 0x0
	v_and_b32_e32 v4, 0x1000000, v4
	s_delay_alu instid0(VALU_DEP_1)
	v_cmpx_ne_u32_e32 0, v4
	s_cbranch_execz .LBB5_2
; %bb.4:                                ;   in Loop: Header=BB5_3 Depth=1
	ds_load_b64 v[4:5], v3 offset:104
	s_wait_dscnt 0x0
	flat_load_u8 v4, v[4:5]
	s_wait_xcnt 0x0
	v_mov_b32_e32 v5, s1
	s_wait_loadcnt_dscnt 0x0
	v_and_b32_e32 v4, 0xffff, v4
	ds_store_b64 v3, v[4:5] offset:104
	s_branch .LBB5_2
.LBB5_5:
	s_or_b32 exec_lo, exec_lo, s2
	s_wait_storecnt_dscnt 0x0
	s_barrier_signal -1
	s_barrier_wait -1
	s_trap 2
	ds_load_b32 v0, v0
	s_wait_dscnt 0x0
	v_cmp_gt_i32_e32 vcc_lo, 1, v0
	s_cbranch_vccnz .LBB5_13
; %bb.6:
	s_mov_b32 s46, 0
	s_get_pc_i64 s[44:45]
	s_add_nc_u64 s[44:45], s[44:45], _ZN12_GLOBAL__N_17runRingI14__hip_fp8_e5m213FuncPreMulSumIS1_E7ProtoLLLi0ELi4ELi0EEEviiP15ncclDevWorkColl@rel64+4
	s_branch .LBB5_8
.LBB5_7:                                ;   in Loop: Header=BB5_8 Depth=1
	s_or_b32 exec_lo, exec_lo, s47
	s_trap 2
	ds_load_b32 v0, v0
	s_add_co_i32 s46, s46, 1
	s_wait_dscnt 0x0
	v_cmp_lt_i32_e32 vcc_lo, s46, v0
	s_cbranch_vccz .LBB5_13
.LBB5_8:                                ; =>This Inner Loop Header: Depth=1
	s_trap 2
	ds_load_b32 v0, v0
	s_cmp_eq_u32 s46, 0
	s_cbranch_scc1 .LBB5_11
; %bb.9:                                ;   in Loop: Header=BB5_8 Depth=1
	s_trap 2
	s_wait_dscnt 0x0
	ds_load_b32 v1, v0
	s_wait_dscnt 0x0
	v_xor_b32_e32 v1, v1, v0
	s_delay_alu instid0(VALU_DEP_1) | instskip(NEXT) | instid1(VALU_DEP_1)
	v_and_b32_e32 v1, 0xff0000, v1
	v_cmp_eq_u32_e32 vcc_lo, 0, v1
	s_cbranch_vccnz .LBB5_11
; %bb.10:                               ;   in Loop: Header=BB5_8 Depth=1
	s_barrier_signal -1
	s_barrier_wait -1
	ds_load_b32 v0, v0
.LBB5_11:                               ;   in Loop: Header=BB5_8 Depth=1
	s_wait_dscnt 0x0
	v_lshrrev_b32_e32 v0, 11, v0
	s_mov_b32 s47, exec_lo
	s_delay_alu instid0(VALU_DEP_1) | instskip(NEXT) | instid1(VALU_DEP_1)
	v_and_b32_e32 v1, 0x1fe0, v0
	v_cmpx_lt_u32_e64 v40, v1
	s_cbranch_execz .LBB5_7
; %bb.12:                               ;   in Loop: Header=BB5_8 Depth=1
	s_mov_b64 s[0:1], src_shared_base
	s_delay_alu instid0(SALU_CYCLE_1)
	v_dual_mov_b32 v0, v40 :: v_dual_mov_b32 v3, s1
	s_mov_b64 s[8:9], s[42:43]
	s_mov_b32 s12, s41
	s_swap_pc_i64 s[30:31], s[44:45]
	s_branch .LBB5_7
.LBB5_13:
	scratch_load_b32 v40, off, s33          ; 4-byte Folded Reload
	v_readlane_b32 s30, v41, 0
	v_readlane_b32 s31, v41, 1
	s_mov_b32 s32, s33
	s_wait_xcnt 0x0
	s_or_saveexec_b32 s0, -1
	scratch_load_b32 v41, off, s33 offset:4 ; 4-byte Folded Reload
	s_wait_xcnt 0x0
	s_mov_b32 exec_lo, s0
	s_mov_b32 s33, s56
	s_wait_loadcnt 0x0
	s_set_pc_i64 s[30:31]
.Lfunc_end5:
	.size	_Z56ncclDevFunc_ReduceScatter_RING_LL_PreMulSum_f8e5m2_0_0_4v, .Lfunc_end5-_Z56ncclDevFunc_ReduceScatter_RING_LL_PreMulSum_f8e5m2_0_0_4v
                                        ; -- End function
	.set .L_Z56ncclDevFunc_ReduceScatter_RING_LL_PreMulSum_f8e5m2_0_0_4v.num_vgpr, max(42, .L_ZN12_GLOBAL__N_17runRingI14__hip_fp8_e5m213FuncPreMulSumIS1_E7ProtoLLLi0ELi4ELi0EEEviiP15ncclDevWorkColl.num_vgpr)
	.set .L_Z56ncclDevFunc_ReduceScatter_RING_LL_PreMulSum_f8e5m2_0_0_4v.num_agpr, max(0, .L_ZN12_GLOBAL__N_17runRingI14__hip_fp8_e5m213FuncPreMulSumIS1_E7ProtoLLLi0ELi4ELi0EEEviiP15ncclDevWorkColl.num_agpr)
	.set .L_Z56ncclDevFunc_ReduceScatter_RING_LL_PreMulSum_f8e5m2_0_0_4v.numbered_sgpr, max(57, .L_ZN12_GLOBAL__N_17runRingI14__hip_fp8_e5m213FuncPreMulSumIS1_E7ProtoLLLi0ELi4ELi0EEEviiP15ncclDevWorkColl.numbered_sgpr)
	.set .L_Z56ncclDevFunc_ReduceScatter_RING_LL_PreMulSum_f8e5m2_0_0_4v.num_named_barrier, max(0, .L_ZN12_GLOBAL__N_17runRingI14__hip_fp8_e5m213FuncPreMulSumIS1_E7ProtoLLLi0ELi4ELi0EEEviiP15ncclDevWorkColl.num_named_barrier)
	.set .L_Z56ncclDevFunc_ReduceScatter_RING_LL_PreMulSum_f8e5m2_0_0_4v.private_seg_size, 16+max(.L_ZN12_GLOBAL__N_17runRingI14__hip_fp8_e5m213FuncPreMulSumIS1_E7ProtoLLLi0ELi4ELi0EEEviiP15ncclDevWorkColl.private_seg_size)
	.set .L_Z56ncclDevFunc_ReduceScatter_RING_LL_PreMulSum_f8e5m2_0_0_4v.uses_vcc, or(1, .L_ZN12_GLOBAL__N_17runRingI14__hip_fp8_e5m213FuncPreMulSumIS1_E7ProtoLLLi0ELi4ELi0EEEviiP15ncclDevWorkColl.uses_vcc)
	.set .L_Z56ncclDevFunc_ReduceScatter_RING_LL_PreMulSum_f8e5m2_0_0_4v.uses_flat_scratch, or(0, .L_ZN12_GLOBAL__N_17runRingI14__hip_fp8_e5m213FuncPreMulSumIS1_E7ProtoLLLi0ELi4ELi0EEEviiP15ncclDevWorkColl.uses_flat_scratch)
	.set .L_Z56ncclDevFunc_ReduceScatter_RING_LL_PreMulSum_f8e5m2_0_0_4v.has_dyn_sized_stack, or(0, .L_ZN12_GLOBAL__N_17runRingI14__hip_fp8_e5m213FuncPreMulSumIS1_E7ProtoLLLi0ELi4ELi0EEEviiP15ncclDevWorkColl.has_dyn_sized_stack)
	.set .L_Z56ncclDevFunc_ReduceScatter_RING_LL_PreMulSum_f8e5m2_0_0_4v.has_recursion, or(1, .L_ZN12_GLOBAL__N_17runRingI14__hip_fp8_e5m213FuncPreMulSumIS1_E7ProtoLLLi0ELi4ELi0EEEviiP15ncclDevWorkColl.has_recursion)
	.set .L_Z56ncclDevFunc_ReduceScatter_RING_LL_PreMulSum_f8e5m2_0_0_4v.has_indirect_call, or(0, .L_ZN12_GLOBAL__N_17runRingI14__hip_fp8_e5m213FuncPreMulSumIS1_E7ProtoLLLi0ELi4ELi0EEEviiP15ncclDevWorkColl.has_indirect_call)
	.section	.AMDGPU.csdata,"",@progbits
; Function info:
; codeLenInByte = 684
; TotalNumSgprs: 59
; NumVgprs: 120
; ScratchSize: 132
; MemoryBound: 0
	.text
	.p2alignl 7, 3214868480
	.fill 96, 4, 3214868480
	.section	.AMDGPU.gpr_maximums,"",@progbits
	.set amdgpu.max_num_vgpr, 120
	.set amdgpu.max_num_agpr, 0
	.set amdgpu.max_num_sgpr, 57
	.text
	.type	__hip_cuid_d0f7693430ddbd00,@object ; @__hip_cuid_d0f7693430ddbd00
	.section	.bss,"aw",@nobits
	.globl	__hip_cuid_d0f7693430ddbd00
__hip_cuid_d0f7693430ddbd00:
	.byte	0                               ; 0x0
	.size	__hip_cuid_d0f7693430ddbd00, 1

	.ident	"AMD clang version 22.0.0git (https://github.com/RadeonOpenCompute/llvm-project roc-7.2.4 26084 f58b06dce1f9c15707c5f808fd002e18c2accf7e)"
	.section	".note.GNU-stack","",@progbits
	.addrsig
	.addrsig_sym _Z56ncclDevFunc_ReduceScatter_RING_LL_PreMulSum_f8e5m2_0_0_1v
	.addrsig_sym _Z56ncclDevFunc_ReduceScatter_RING_LL_PreMulSum_f8e5m2_0_0_2v
	.addrsig_sym _Z56ncclDevFunc_ReduceScatter_RING_LL_PreMulSum_f8e5m2_0_0_4v
	.addrsig_sym ncclShmem
	.addrsig_sym __hip_cuid_d0f7693430ddbd00
	.amdgpu_metadata
---
amdhsa.kernels:  []
amdhsa.target:   amdgcn-amd-amdhsa--gfx1250
amdhsa.version:
  - 1
  - 2
...

	.end_amdgpu_metadata
